;; amdgpu-corpus repo=ROCm/aiter kind=harvested arch=n/a opt=n/a

/root/src/amdgpu-assembly/repos/ROCm__aiter/hsa/gfx950/fmoe/silu/fmoe_bf16_blockscaleBf16_g1u1_ps_silu_32x256.co:	file format elf64-amdgpu

Disassembly of section .text:

0000000000002e00 <_ZN5aiter47fmoe_bf16_blockscaleBf16_g1u1_vs_ps_silu_32x256E>:
	v_lshrrev_b32_e32 v1, 10, v0                               // 000000002E00: 2002008A
	v_lshrrev_b32_e32 v2, 10, v1                               // 000000002E04: 2004028A
	v_and_b32_e32 v2, 0x3ff, v2                                // 000000002E08: 260404FF 000003FF
	v_and_b32_e32 v1, 0x3ff, v1                                // 000000002E10: 260202FF 000003FF
	v_and_b32_e32 v0, 0x3ff, v0                                // 000000002E18: 260000FF 000003FF
	v_lshrrev_b32_e32 v3, 6, v0                                // 000000002E20: 20060086
	v_and_b32_e32 v0, 63, v0                                   // 000000002E24: 260000BF
	s_mov_b32 s2, s2                                           // 000000002E28: BE820002
	s_mov_b32 s3, s3                                           // 000000002E2C: BE830003
	s_mov_b32 s4, s4                                           // 000000002E30: BE840004
	s_mov_b32 s99, s2                                          // 000000002E34: BEE30002
	v_readfirstlane_b32 s7, v3                                 // 000000002E38: 7E0E0503
	s_and_b32 s1, s1, 0xffff                                   // 000000002E3C: 8601FF01 0000FFFF
	s_mov_b32 s96, 0                                           // 000000002E44: BEE00080
	s_mov_b32 s97, 0                                           // 000000002E48: BEE10080
	s_mov_b32 s100, 0                                          // 000000002E4C: BEE40080
	s_load_dword s96, s[0:1], 0x1a0                            // 000000002E50: C0021800 000001A0
	s_load_dword s97, s[0:1], 0x1b0                            // 000000002E58: C0021840 000001B0
	s_waitcnt lgkmcnt(0)                                       // 000000002E60: BF8CC07F
	s_cmp_eq_u32 s96, 0                                        // 000000002E64: BF068060
	s_cbranch_scc1 label_005C                                  // 000000002E68: BF850041
	v_cvt_f32_u32_e32 v50, s97                                 // 000000002E6C: 7E640C61
	s_sub_i32 s60, 0, s97                                      // 000000002E70: 81BC6180
	v_rcp_iflag_f32_e32 v50, v50                               // 000000002E74: 7E644732
	s_nop 0                                                    // 000000002E78: BF800000
	v_mul_f32_e32 v50, 0x4f7ffffe, v50                         // 000000002E7C: 0A6464FF 4F7FFFFE
	v_cvt_u32_f32_e32 v50, v50                                 // 000000002E84: 7E640F32
	v_mul_lo_u32 v51, s60, v50                                 // 000000002E88: D2850033 0002643C
	v_mul_hi_u32 v51, v50, v51                                 // 000000002E90: D2860033 00026732
	v_add_u32_e32 v50, v50, v51                                // 000000002E98: 68646732
	v_mul_hi_u32 v50, s96, v50                                 // 000000002E9C: D2860032 00026460
	v_mul_lo_u32 v51, v50, s97                                 // 000000002EA4: D2850033 0000C332
	v_sub_u32_e32 v53, s96, v51                                // 000000002EAC: 6A6A6660
	v_add_u32_e32 v52, 1, v50                                  // 000000002EB0: 68686481
	v_cmp_le_u32_e32 vcc, s97, v53                             // 000000002EB4: 7D966A61
	v_subrev_u32_e32 v51, s97, v53                             // 000000002EB8: 6C666A61
	s_nop 0                                                    // 000000002EBC: BF800000
	v_cndmask_b32_e32 v50, v50, v52, vcc                       // 000000002EC0: 00646932
	v_cndmask_b32_e32 v53, v53, v51, vcc                       // 000000002EC4: 006A6735
	v_add_u32_e32 v51, 1, v50                                  // 000000002EC8: 68666481
	v_cmp_le_u32_e32 vcc, s97, v53                             // 000000002ECC: 7D966A61
	s_nop 1                                                    // 000000002ED0: BF800001
	v_cndmask_b32_e32 v53, v50, v51, vcc                       // 000000002ED4: 006A6732
	s_nop 3                                                    // 000000002ED8: BF800003
	v_readfirstlane_b32 s98, v53                               // 000000002EDC: 7EC40535
	s_nop 3                                                    // 000000002EE0: BF800003

0000000000002ee4 <label_0039>:
	s_mov_b32 s4, 1                                            // 000000002EE4: BE840081
	v_cvt_f32_u32_e32 v50, s97                                 // 000000002EE8: 7E640C61
	s_sub_i32 s60, 0, s97                                      // 000000002EEC: 81BC6180
	v_rcp_iflag_f32_e32 v50, v50                               // 000000002EF0: 7E644732
	s_nop 0                                                    // 000000002EF4: BF800000
	v_mul_f32_e32 v50, 0x4f7ffffe, v50                         // 000000002EF8: 0A6464FF 4F7FFFFE
	v_cvt_u32_f32_e32 v50, v50                                 // 000000002F00: 7E640F32
	v_mul_lo_u32 v51, s60, v50                                 // 000000002F04: D2850033 0002643C
	v_mul_hi_u32 v51, v50, v51                                 // 000000002F0C: D2860033 00026732
	v_add_u32_e32 v50, v50, v51                                // 000000002F14: 68646732
	v_mul_hi_u32 v50, s99, v50                                 // 000000002F18: D2860032 00026463
	v_mul_lo_u32 v51, v50, s97                                 // 000000002F20: D2850033 0000C332
	v_sub_u32_e32 v53, s99, v51                                // 000000002F28: 6A6A6663
	v_add_u32_e32 v52, 1, v50                                  // 000000002F2C: 68686481
	v_cmp_le_u32_e32 vcc, s97, v53                             // 000000002F30: 7D966A61
	v_subrev_u32_e32 v51, s97, v53                             // 000000002F34: 6C666A61
	s_nop 0                                                    // 000000002F38: BF800000
	v_cndmask_b32_e32 v50, v50, v52, vcc                       // 000000002F3C: 00646932
	v_cndmask_b32_e32 v53, v53, v51, vcc                       // 000000002F40: 006A6735
	v_add_u32_e32 v51, 1, v50                                  // 000000002F44: 68666481
	v_cmp_le_u32_e32 vcc, s97, v53                             // 000000002F48: 7D966A61
	s_nop 1                                                    // 000000002F4C: BF800001
	v_cndmask_b32_e32 v53, v50, v51, vcc                       // 000000002F50: 006A6732
	s_nop 3                                                    // 000000002F54: BF800003
	v_readfirstlane_b32 s3, v53                                // 000000002F58: 7E060535
	s_nop 3                                                    // 000000002F5C: BF800003
	s_mul_i32 s60, s3, s97                                     // 000000002F60: 923C6103
	s_sub_u32 s2, s99, s60                                     // 000000002F64: 80823C63
	s_mul_i32 s60, s98, s100                                   // 000000002F68: 923C6462
	s_add_i32 s3, s3, s60                                      // 000000002F6C: 81033C03

0000000000002f70 <label_005C>:
	s_and_b32 s1, s1, 0xffff                                   // 000000002F70: 8601FF01 0000FFFF
	s_load_dwordx2 s[8:9], s[0:1], 0x0                         // 000000002F78: C0060200 00000000
	s_load_dwordx2 s[20:21], s[0:1], 0x10                      // 000000002F80: C0060500 00000010
	s_load_dwordx2 s[24:25], s[0:1], 0x20                      // 000000002F88: C0060600 00000020
	s_load_dwordx2 s[50:51], s[0:1], 0x30                      // 000000002F90: C0060C80 00000030
	s_load_dwordx2 s[12:13], s[0:1], 0x40                      // 000000002F98: C0060300 00000040
	s_load_dwordx2 s[28:29], s[0:1], 0x50                      // 000000002FA0: C0060700 00000050
	s_load_dwordx2 s[32:33], s[0:1], 0x60                      // 000000002FA8: C0060800 00000060
	s_load_dwordx2 s[16:17], s[0:1], 0x70                      // 000000002FB0: C0060400 00000070
	s_load_dwordx2 s[36:37], s[0:1], 0x80                      // 000000002FB8: C0060900 00000080
	s_load_dwordx2 s[44:45], s[0:1], 0x90                      // 000000002FC0: C0060B00 00000090
	s_load_dwordx2 s[40:41], s[0:1], 0xa0                      // 000000002FC8: C0060A00 000000A0
	s_load_dwordx2 s[46:47], s[0:1], 0xb0                      // 000000002FD0: C0060B80 000000B0
	s_load_dword s64, s[0:1], 0xc0                             // 000000002FD8: C0021000 000000C0
	s_load_dword s65, s[0:1], 0xd0                             // 000000002FE0: C0021040 000000D0
	s_load_dword s67, s[0:1], 0xf0                             // 000000002FE8: C00210C0 000000F0
	s_load_dword s68, s[0:1], 0x100                            // 000000002FF0: C0021100 00000100
	s_load_dword s69, s[0:1], 0x110                            // 000000002FF8: C0021140 00000110
	s_load_dword s70, s[0:1], 0x120                            // 000000003000: C0021180 00000120
	s_load_dword s71, s[0:1], 0x130                            // 000000003008: C00211C0 00000130
	s_load_dword s72, s[0:1], 0x140                            // 000000003010: C0021200 00000140
	s_load_dword s73, s[0:1], 0x150                            // 000000003018: C0021240 00000150
	s_load_dword s74, s[0:1], 0x160                            // 000000003020: C0021280 00000160
	s_load_dword s75, s[0:1], 0x170                            // 000000003028: C00212C0 00000170
	s_load_dword s76, s[0:1], 0x180                            // 000000003030: C0021300 00000180
	s_mov_b32 s2, s2                                           // 000000003038: BE820002
	s_mov_b32 s3, s3                                           // 00000000303C: BE830003
	s_mov_b32 s4, s4                                           // 000000003040: BE840004
	s_waitcnt lgkmcnt(0)                                       // 000000003044: BF8CC07F
	s_and_b32 s51, s51, 0xffff                                 // 000000003048: 8633FF33 0000FFFF
	s_load_dword s66, s[50:51], 0x4                            // 000000003050: C0021099 00000004
	s_load_dword s50, s[50:51], 0x0                            // 000000003058: C0020C99 00000000
	s_waitcnt lgkmcnt(0)                                       // 000000003060: BF8CC07F
	s_and_b32 s45, s45, 0xffff                                 // 000000003064: 862DFF2D 0000FFFF
	s_and_b32 s47, s47, 0xffff                                 // 00000000306C: 862FFF2F 0000FFFF
	s_and_b32 s9, s9, 0xffff                                   // 000000003074: 8609FF09 0000FFFF
	s_mul_i32 s60, s66, s68                                    // 00000000307C: 923C4442
	s_mul_i32 s61, s66, 4                                      // 000000003080: 923D8442
	s_mov_b32 s22, s60                                         // 000000003084: BE96003C
	s_mov_b32 s26, -16                                         // 000000003088: BE9A00D0
	s_mov_b32 s14, -16                                         // 00000000308C: BE8E00D0
	s_mov_b32 s42, -16                                         // 000000003090: BEAA00D0
	s_mov_b32 s30, -16                                         // 000000003094: BE9E00D0
	s_mov_b32 s34, -16                                         // 000000003098: BEA200D0
	s_mov_b32 s38, -16                                         // 00000000309C: BEA600D0
	s_mov_b32 s18, -16                                         // 0000000030A0: BE9200D0
	s_mul_i32 s60, s66, s71                                    // 0000000030A4: 923C4742
	s_mov_b32 s10, s60                                         // 0000000030A8: BE8A003C
	s_mov_b32 s23, 0x20000                                     // 0000000030AC: BE9700FF 00020000
	s_mov_b32 s27, 0x20000                                     // 0000000030B4: BE9B00FF 00020000
	s_mov_b32 s15, 0x20000                                     // 0000000030BC: BE8F00FF 00020000
	s_mov_b32 s43, 0x20000                                     // 0000000030C4: BEAB00FF 00020000
	s_mov_b32 s31, 0x20000                                     // 0000000030CC: BE9F00FF 00020000
	s_mov_b32 s35, 0x20000                                     // 0000000030D4: BEA300FF 00020000
	s_mov_b32 s39, 0x20000                                     // 0000000030DC: BEA700FF 00020000
	s_mov_b32 s19, 0x20000                                     // 0000000030E4: BE9300FF 00020000
	s_mov_b32 s11, 0x20000                                     // 0000000030EC: BE8B00FF 00020000
	s_and_b32 s21, s21, 0xffff                                 // 0000000030F4: 8615FF15 0000FFFF
	s_and_b32 s25, s25, 0xffff                                 // 0000000030FC: 8619FF19 0000FFFF
	s_and_b32 s13, s13, 0xffff                                 // 000000003104: 860DFF0D 0000FFFF
	s_and_b32 s41, s41, 0xffff                                 // 00000000310C: 8629FF29 0000FFFF
	s_and_b32 s29, s29, 0xffff                                 // 000000003114: 861DFF1D 0000FFFF
	s_and_b32 s33, s33, 0xffff                                 // 00000000311C: 8621FF21 0000FFFF
	s_and_b32 s37, s37, 0xffff                                 // 000000003124: 8625FF25 0000FFFF
	s_and_b32 s17, s17, 0xffff                                 // 00000000312C: 8611FF11 0000FFFF
	s_or_b32 s21, s21, 0x40000                                 // 000000003134: 8715FF15 00040000
	s_or_b32 s25, s25, 0x40000                                 // 00000000313C: 8719FF19 00040000
	s_or_b32 s13, s13, 0x40000                                 // 000000003144: 870DFF0D 00040000
	s_or_b32 s41, s41, 0x40000                                 // 00000000314C: 8729FF29 00040000
	s_or_b32 s29, s29, 0x40000                                 // 000000003154: 871DFF1D 00040000
	s_or_b32 s33, s33, 0x40000                                 // 00000000315C: 8721FF21 00040000
	s_or_b32 s37, s37, 0x40000                                 // 000000003164: 8725FF25 00040000
	s_or_b32 s17, s17, 0x40000                                 // 00000000316C: 8711FF11 00040000
	v_accvgpr_write_b32 a127, 0                                // 000000003174: D3D9407F 18000080
	v_mov_b32_e32 v255, 0                                      // 00000000317C: 7FFE0280
	s_waitcnt lgkmcnt(0)                                       // 000000003180: BF8CC07F
	s_mul_i32 s60, s3, 32                                      // 000000003184: 923CA003
	s_cmp_lt_i32 s60, s50                                      // 000000003188: BF04323C
	s_cbranch_scc0 label_1B24                                  // 00000000318C: BF841A40
	s_lshr_b32 s60, s7, 1                                      // 000000003190: 8F3C8107
	s_lshl_b32 s60, s60, 3                                     // 000000003194: 8E3C833C
	s_and_b32 s61, s7, 1                                       // 000000003198: 863D8107
	s_lshl_b32 s61, s61, 1                                     // 00000000319C: 8E3D813D
	s_or_b32 s60, s60, s61                                     // 0000000031A0: 873C3D3C
	v_lshrrev_b32_e32 v50, 3, v0                               // 0000000031A4: 20640083
	v_and_b32_e32 v51, 2, v50                                  // 0000000031A8: 26666482
	v_lshlrev_b32_e32 v51, 1, v51                              // 0000000031AC: 24666681
	v_and_b32_e32 v52, 1, v50                                  // 0000000031B0: 26686481
	v_or_b32_e32 v51, v51, v52                                 // 0000000031B4: 28666933
	v_add_u32_e32 v51, s60, v51                                // 0000000031B8: 6866663C
	v_and_b32_e32 v52, 3, v0                                   // 0000000031BC: 26680083
	v_lshlrev_b32_e32 v52, 4, v52                              // 0000000031C0: 24686884
	v_add_u32_e32 v51, v51, v52                                // 0000000031C4: 68666933
	v_lshrrev_b32_e32 v50, 5, v0                               // 0000000031C8: 20640085
	v_lshlrev_b32_e32 v50, 8, v50                              // 0000000031CC: 24646488
	v_lshlrev_b32_e32 v51, 2, v51                              // 0000000031D0: 24666682
	v_add_u32_e32 v33, v50, v51                                // 0000000031D4: 68426732
	s_mov_b32 s80, 0                                           // 0000000031D8: BED00080
	s_mov_b32 s81, s64                                         // 0000000031DC: BED10040
	s_mul_i32 s60, s3, 4                                       // 0000000031E0: 923C8403
	s_add_u32 s46, s60, s46                                    // 0000000031E4: 802E2E3C
	s_addc_u32 s47, 0, s47                                     // 0000000031E8: 822F2F80
	s_load_dword s5, s[46:47], 0x0                             // 0000000031EC: C0020157 00000000
	s_mul_i32 s60, s3, 32                                      // 0000000031F4: 923CA003
	s_mul_i32 s60, 4, s60                                      // 0000000031F8: 923C3C84
	v_and_b32_e32 v50, 15, v0                                  // 0000000031FC: 2664008F
	v_lshlrev_b32_e32 v50, 2, v50                              // 000000003200: 24646482
	v_add_u32_e32 v50, s60, v50                                // 000000003204: 6864643C
	v_mov_b32_e32 v51, 0                                       // 000000003208: 7E660280
	global_load_dword v7, v50, s[44:45]                        // 00000000320C: DC508000 072C0032
	v_add_u32_e32 v50, 64, v50                                 // 000000003214: 686464C0
	global_load_dword v8, v50, s[44:45]                        // 000000003218: DC508000 082C0032
	s_mul_i32 s60, s3, 32                                      // 000000003220: 923CA003
	s_lshr_b32 s61, s7, 1                                      // 000000003224: 8F3D8107
	s_mul_i32 s61, s61, 8                                      // 000000003228: 923D883D
	s_add_u32 s60, s61, s60                                    // 00000000322C: 803C3C3D
	s_and_b32 s61, s7, 1                                       // 000000003230: 863D8107
	s_mul_i32 s61, s61, 2                                      // 000000003234: 923D823D
	s_add_u32 s60, s61, s60                                    // 000000003238: 803C3C3D
	s_mul_i32 s60, 4, s60                                      // 00000000323C: 923C3C84
	s_add_u32 s44, s60, s44                                    // 000000003240: 802C2C3C
	s_addc_u32 s45, 0, s45                                     // 000000003244: 822D2D80
	s_load_dword s82, s[44:45], 0x0                            // 000000003248: C0021496 00000000
	s_load_dword s83, s[44:45], 0x4                            // 000000003250: C00214D6 00000004
	s_load_dword s84, s[44:45], 0x10                           // 000000003258: C0021516 00000010
	s_load_dword s85, s[44:45], 0x14                           // 000000003260: C0021556 00000014
	s_load_dword s86, s[44:45], 0x40                           // 000000003268: C0021596 00000040
	s_load_dword s87, s[44:45], 0x44                           // 000000003270: C00215D6 00000044
	s_load_dword s88, s[44:45], 0x50                           // 000000003278: C0021616 00000050
	s_load_dword s89, s[44:45], 0x54                           // 000000003280: C0021656 00000054
	s_waitcnt lgkmcnt(0)                                       // 000000003288: BF8CC07F
	s_and_b32 s82, s82, 0xffffff                               // 00000000328C: 8652FF52 00FFFFFF
	s_mul_i32 s62, s82, s68                                    // 000000003294: 923E4452
	s_lshl_b32 s60, 0xff, 0                                    // 000000003298: 8E3C80FF 000000FF
	s_mov_b32 s61, 0                                           // 0000000032A0: BEBD0080
	s_mov_b64 exec, s[60:61]                                   // 0000000032A4: BEFE013C
	v_mov_b32_e32 v36, s62                                     // 0000000032A8: 7E48023E
	s_and_b32 s83, s83, 0xffffff                               // 0000000032AC: 8653FF53 00FFFFFF
	s_mul_i32 s62, s83, s68                                    // 0000000032B4: 923E4453
	s_lshl_b32 s60, 0xff, 8                                    // 0000000032B8: 8E3C88FF 000000FF
	s_mov_b64 exec, s[60:61]                                   // 0000000032C0: BEFE013C
	v_mov_b32_e32 v36, s62                                     // 0000000032C4: 7E48023E
	s_and_b32 s84, s84, 0xffffff                               // 0000000032C8: 8654FF54 00FFFFFF
	s_mul_i32 s62, s84, s68                                    // 0000000032D0: 923E4454
	s_lshl_b32 s60, 0xff, 16                                   // 0000000032D4: 8E3C90FF 000000FF
	s_mov_b64 exec, s[60:61]                                   // 0000000032DC: BEFE013C
	v_mov_b32_e32 v36, s62                                     // 0000000032E0: 7E48023E
	s_and_b32 s85, s85, 0xffffff                               // 0000000032E4: 8655FF55 00FFFFFF
	s_mul_i32 s62, s85, s68                                    // 0000000032EC: 923E4455
	s_lshl_b32 s60, 0xff, 24                                   // 0000000032F0: 8E3C98FF 000000FF
	s_mov_b64 exec, s[60:61]                                   // 0000000032F8: BEFE013C
	v_mov_b32_e32 v36, s62                                     // 0000000032FC: 7E48023E
	s_and_b32 s86, s86, 0xffffff                               // 000000003300: 8656FF56 00FFFFFF
	s_mul_i32 s62, s86, s68                                    // 000000003308: 923E4456
	s_lshl_b32 s61, 0xff, 0                                    // 00000000330C: 8E3D80FF 000000FF
	s_mov_b32 s60, 0                                           // 000000003314: BEBC0080
	s_mov_b64 exec, s[60:61]                                   // 000000003318: BEFE013C
	v_mov_b32_e32 v36, s62                                     // 00000000331C: 7E48023E
	s_and_b32 s87, s87, 0xffffff                               // 000000003320: 8657FF57 00FFFFFF
	s_mul_i32 s62, s87, s68                                    // 000000003328: 923E4457
	s_lshl_b32 s61, 0xff, 8                                    // 00000000332C: 8E3D88FF 000000FF
	s_mov_b64 exec, s[60:61]                                   // 000000003334: BEFE013C
	v_mov_b32_e32 v36, s62                                     // 000000003338: 7E48023E
	s_and_b32 s88, s88, 0xffffff                               // 00000000333C: 8658FF58 00FFFFFF
	s_mul_i32 s62, s88, s68                                    // 000000003344: 923E4458
	s_lshl_b32 s61, 0xff, 16                                   // 000000003348: 8E3D90FF 000000FF
	s_mov_b64 exec, s[60:61]                                   // 000000003350: BEFE013C
	v_mov_b32_e32 v36, s62                                     // 000000003354: 7E48023E
	s_and_b32 s89, s89, 0xffffff                               // 000000003358: 8659FF59 00FFFFFF
	s_mul_i32 s62, s89, s68                                    // 000000003360: 923E4459
	s_lshl_b32 s61, 0xff, 24                                   // 000000003364: 8E3D98FF 000000FF
	s_mov_b64 exec, s[60:61]                                   // 00000000336C: BEFE013C
	v_mov_b32_e32 v36, s62                                     // 000000003370: 7E48023E
	s_mov_b32 s60, -1                                          // 000000003374: BEBC00C1
	s_mov_b32 s61, -1                                          // 000000003378: BEBD00C1
	s_mov_b64 exec, s[60:61]                                   // 00000000337C: BEFE013C
	v_and_b32_e64 v50, v0, 7                                   // 000000003380: D1130032 00010F00
	v_lshlrev_b32_e32 v50, 5, v50                              // 000000003388: 24646485
	v_add_u32_e32 v36, v36, v50                                // 00000000338C: 68486524
	s_mov_b32 s62, 0x100                                       // 000000003390: BEBE00FF 00000100
	v_add_u32_e64 v37, v36, s62                                // 000000003398: D1340025 00007D24
	v_lshlrev_b32_e32 v50, 2, v0                               // 0000000033A0: 24640082
	s_mul_i32 s60, s82, s71                                    // 0000000033A4: 923C4752
	v_add_u32_e64 v80, v50, s60                                // 0000000033A8: D1340050 00007932
	v_mov_b32_e32 v81, 0                                       // 0000000033B0: 7EA20280
	s_mul_i32 s60, s83, s71                                    // 0000000033B4: 923C4753
	v_add_u32_e64 v82, v50, s60                                // 0000000033B8: D1340052 00007932
	v_mov_b32_e32 v83, 0                                       // 0000000033C0: 7EA60280
	s_mul_i32 s60, s84, s71                                    // 0000000033C4: 923C4754
	v_add_u32_e64 v84, v50, s60                                // 0000000033C8: D1340054 00007932
	v_mov_b32_e32 v85, 0                                       // 0000000033D0: 7EAA0280
	s_mul_i32 s60, s85, s71                                    // 0000000033D4: 923C4755
	v_add_u32_e64 v86, v50, s60                                // 0000000033D8: D1340056 00007932
	v_mov_b32_e32 v87, 0                                       // 0000000033E0: 7EAE0280
	s_mul_i32 s60, s86, s71                                    // 0000000033E4: 923C4756
	v_add_u32_e64 v88, v50, s60                                // 0000000033E8: D1340058 00007932
	v_mov_b32_e32 v89, 0                                       // 0000000033F0: 7EB20280
	s_mul_i32 s60, s87, s71                                    // 0000000033F4: 923C4757
	v_add_u32_e64 v90, v50, s60                                // 0000000033F8: D134005A 00007932
	v_mov_b32_e32 v91, 0                                       // 000000003400: 7EB60280
	s_mul_i32 s60, s88, s71                                    // 000000003404: 923C4758
	v_add_u32_e64 v92, v50, s60                                // 000000003408: D134005C 00007932
	v_mov_b32_e32 v93, 0                                       // 000000003410: 7EBA0280
	s_mul_i32 s60, s89, s71                                    // 000000003414: 923C4759
	v_add_u32_e64 v94, v50, s60                                // 000000003418: D134005E 00007932
	v_mov_b32_e32 v95, 0                                       // 000000003420: 7EBE0280
	s_mul_i32 s60, s7, 0x420                                   // 000000003424: 923CFF07 00000420
	s_add_u32 s50, 0, s60                                      // 00000000342C: 80323C80
	s_add_u32 s51, 0x2500, s50                                 // 000000003430: 803332FF 00002500
	v_and_b32_e32 v50, 15, v0                                  // 000000003438: 2664008F
	v_lshrrev_b32_e32 v51, 3, v50                              // 00000000343C: 20666483
	v_mul_lo_u32 v51, 2, v51                                   // 000000003440: D2850033 00026682
	v_and_b32_e32 v50, 3, v0                                   // 000000003448: 26640083
	v_lshrrev_b32_e32 v52, 1, v50                              // 00000000344C: 20686481
	v_add_u32_e32 v50, v51, v52                                // 000000003450: 68646933
	v_mul_i32_i24_e32 v2, 0x420, v50                           // 000000003454: 0C0464FF 00000420
	v_and_b32_e32 v50, 7, v0                                   // 00000000345C: 26640087
	v_lshrrev_b32_e32 v51, 2, v50                              // 000000003460: 20666482
	v_mul_i32_i24_e32 v51, 0x100, v51                          // 000000003464: 0C6666FF 00000100
	v_and_b32_e32 v50, 1, v0                                   // 00000000346C: 26640081
	v_mul_i32_i24_e32 v52, 0x80, v50                           // 000000003470: 0C6864FF 00000080
	v_add_u32_e32 v2, v51, v2                                  // 000000003478: 68040533
	v_add_u32_e32 v2, v52, v2                                  // 00000000347C: 68040534
	v_lshrrev_b32_e32 v50, 4, v0                               // 000000003480: 20640084
	v_mul_lo_u32 v50, 16, v50                                  // 000000003484: D2850032 00026490
	v_add_u32_e32 v2, v50, v2                                  // 00000000348C: 68040532
	s_mul_i32 s60, s2, 0x100                                   // 000000003490: 923CFF02 00000100
	s_mul_i32 s60, s60, s69                                    // 000000003498: 923C453C
	s_mul_i32 s61, s5, s72                                     // 00000000349C: 923D4805
	s_add_u32 s60, s61, s60                                    // 0000000034A0: 803C3C3D
	s_add_u32 s24, s60, s24                                    // 0000000034A4: 8018183C
	s_addc_u32 s25, 0, s25                                     // 0000000034A8: 82191980
	s_mul_i32 s60, s7, 16                                      // 0000000034AC: 923C9007
	s_mul_i32 s60, s60, s69                                    // 0000000034B0: 923C453C
	v_lshlrev_b32_e32 v38, 4, v0                               // 0000000034B4: 244C0084
	v_add_u32_e32 v38, s60, v38                                // 0000000034B8: 684C4C3C
	s_mul_i32 s60, 64, s69                                     // 0000000034BC: 923C45C0
	v_add_u32_e32 v39, s60, v38                                // 0000000034C0: 684E4C3C
	v_add_u32_e32 v40, s60, v39                                // 0000000034C4: 68504E3C
	v_add_u32_e32 v41, s60, v40                                // 0000000034C8: 6852503C
	s_mov_b32 s92, s24                                         // 0000000034CC: BEDC0018
	s_mov_b32 s93, s25                                         // 0000000034D0: BEDD0019
	s_mov_b32 s94, s26                                         // 0000000034D4: BEDE001A
	s_mov_b32 s95, s27                                         // 0000000034D8: BEDF001B
	s_mul_i32 s60, s69, s65                                    // 0000000034DC: 923C4145
	s_add_u32 s92, s60, s92                                    // 0000000034E0: 805C5C3C
	s_addc_u32 s93, 0, s93                                     // 0000000034E4: 825D5D80
	s_mul_i32 s60, s2, 0x1000                                  // 0000000034E8: 923CFF02 00001000
	s_mul_i32 s61, s5, s73                                     // 0000000034F0: 923D4905
	s_add_u32 s60, s61, s60                                    // 0000000034F4: 803C3C3D
	s_add_u32 s12, s60, s12                                    // 0000000034F8: 800C0C3C
	s_addc_u32 s13, 0, s13                                     // 0000000034FC: 820D0D80
	s_mul_i32 s60, s7, 16                                      // 000000003500: 923C9007
	s_mul_i32 s60, s60, s70                                    // 000000003504: 923C463C
	v_lshlrev_b32_e32 v42, 4, v0                               // 000000003508: 24540084
	v_add_u32_e32 v42, s60, v42                                // 00000000350C: 6854543C
	s_mul_i32 s60, 64, s70                                     // 000000003510: 923C46C0
	v_add_u32_e32 v43, s60, v42                                // 000000003514: 6856543C
	v_add_u32_e32 v44, s60, v43                                // 000000003518: 6858563C
	v_add_u32_e32 v45, s60, v44                                // 00000000351C: 685A583C
	s_mul_i32 s60, s70, 0x100                                  // 000000003520: 923CFF46 00000100
	s_mov_b32 s78, 0x800                                       // 000000003528: BECE00FF 00000800
	s_mul_i32 s61, s78, 1                                      // 000000003530: 923D814E
	s_sub_u32 s56, s60, s61                                    // 000000003534: 80B83D3C
	s_mul_i32 s60, s3, 32                                      // 000000003538: 923CA003
	s_mul_i32 s60, 4, s60                                      // 00000000353C: 923C3C84
	s_add_u32 s40, s60, s40                                    // 000000003540: 8028283C
	s_addc_u32 s41, 0, s41                                     // 000000003544: 82292980
	v_and_b32_e32 v50, 15, v0                                  // 000000003548: 2664008F
	v_lshlrev_b32_e32 v9, 2, v50                               // 00000000354C: 24126482
	v_add_u32_e32 v10, 64, v9                                  // 000000003550: 681412C0
	s_lshr_b32 s60, s64, 7                                     // 000000003554: 8F3C8740
	s_mul_i32 s61, s60, 4                                      // 000000003558: 923D843C
	v_and_b32_e64 v11, v0, 1                                   // 00000000355C: D113000B 00010300
	v_mul_lo_u32 v11, v11, s61                                 // 000000003564: D285000B 00007B0B
	v_and_b32_e64 v50, v0, 3                                   // 00000000356C: D1130032 00010700
	v_lshrrev_b32_e32 v50, 1, v50                              // 000000003574: 20646481
	v_mul_lo_u32 v50, 4, v50                                   // 000000003578: D2850032 00026484
	v_add_u32_e32 v11, v11, v50                                // 000000003580: 6816650B
	s_lshr_b32 s60, s65, 7                                     // 000000003584: 8F3C8741
	s_mul_i32 s60, s60, s61                                    // 000000003588: 923C3D3C
	v_add_u32_e64 v13, v11, s60                                // 00000000358C: D134000D 0000790B
	s_mov_b32 s4, 8                                            // 000000003594: BE840088
	s_mul_i32 s60, s2, 2                                       // 000000003598: 923C8202
	s_mul_i32 s60, s60, s61                                    // 00000000359C: 923C3D3C
	s_mul_i32 s61, s5, s74                                     // 0000000035A0: 923D4A05
	s_add_u32 s61, s61, s60                                    // 0000000035A4: 803D3C3D
	s_add_u32 s32, s61, s32                                    // 0000000035A8: 8020203D
	s_addc_u32 s33, 0, s33                                     // 0000000035AC: 82212180
	s_lshr_b32 s60, s65, 7                                     // 0000000035B0: 8F3C8741
	s_mul_i32 s61, s60, 4                                      // 0000000035B4: 923D843C
	s_mul_i32 s60, s2, 2                                       // 0000000035B8: 923C8202
	s_mul_i32 s60, s60, 4                                      // 0000000035BC: 923C843C
	v_and_b32_e64 v6, v0, 1                                    // 0000000035C0: D1130006 00010300
	v_mul_lo_u32 v6, v6, s61                                   // 0000000035C8: D2850006 00007B06
	v_and_b32_e64 v50, v0, 3                                   // 0000000035D0: D1130032 00010700
	v_lshrrev_b32_e32 v50, 1, v50                              // 0000000035D8: 20646481
	v_mul_lo_u32 v50, 4, v50                                   // 0000000035DC: D2850032 00026484
	v_add_i32 v6, v6, v50                                      // 0000000035E4: D29C0006 00026506
	v_add_i32 v6, v6, s60                                      // 0000000035EC: D29C0006 00007906
	s_mul_i32 s60, s5, s75                                     // 0000000035F4: 923C4B05
	s_add_u32 s16, s60, s16                                    // 0000000035F8: 8010103C
	s_addc_u32 s17, 0, s17                                     // 0000000035FC: 82111180
	s_mov_b32 s57, 0x200                                       // 000000003600: BEB900FF 00000200
	s_mov_b32 s58, 0x1000                                      // 000000003608: BEBA00FF 00001000
	s_mul_i32 s79, 2, s61                                      // 000000003610: 924F3D82
	s_mov_b32 s59, 0                                           // 000000003614: BEBB0080
	s_mov_b32 s90, s58                                         // 000000003618: BEDA003A
	s_mov_b32 s52, 0x7060302                                   // 00000000361C: BEB400FF 07060302
	s_mov_b32 s53, 0x400                                       // 000000003624: BEB500FF 00000400
	s_mov_b32 s54, 0x40100                                     // 00000000362C: BEB600FF 00040100
	s_mov_b32 s55, 0x4020100                                   // 000000003634: BEB700FF 04020100
	s_mov_b32 s6, 0x3fb8aa3b                                   // 00000000363C: BE8600FF 3FB8AA3B
	s_mov_b32 s77, 0xbd92220c                                  // 000000003644: BECD00FF BD92220C
	s_mov_b32 m0, s50                                          // 00000000364C: BEFC0032
	v_mov_b32_e32 v1, 0xbfcc4231                               // 000000003650: 7E0202FF BFCC4231
	v_mov_b32_e32 v47, 0xffff0000                              // 000000003658: 7E5E02FF FFFF0000
	v_mov_b32_e32 v48, 0x7fff0000                              // 000000003660: 7E6002FF 7FFF0000
	v_mov_b32_e32 v49, 0x7fff                                  // 000000003668: 7E6202FF 00007FFF
	s_waitcnt vmcnt(0) expcnt(0) lgkmcnt(0)                    // 000000003670: BF8C0000
	v_and_b32_e32 v7, 0xffffff, v7                             // 000000003674: 260E0EFF 00FFFFFF
	v_and_b32_e32 v8, 0xffffff, v8                             // 00000000367C: 261010FF 00FFFFFF
	v_lshlrev_b32_e32 v7, 2, v7                                // 000000003684: 240E0E82
	v_lshlrev_b32_e32 v8, 2, v8                                // 000000003688: 24101082
	v_lshlrev_b32_e32 v3, 2, v0                                // 00000000368C: 24060082
	buffer_load_dword v23, v11, s[32:35], 0 offen              // 000000003690: E0501000 8008170B
	buffer_load_dword v25, v9, s[40:43], 0 offen               // 000000003698: E0501000 800A1909
	buffer_load_dword v26, v10, s[40:43], 0 offen              // 0000000036A0: E0501000 800A1A0A
	buffer_load_dwordx4 v[192:195], v36, s[20:23], 0 offen     // 0000000036A8: E05C1000 8005C024
	buffer_load_dwordx4 v[196:199], v36, s[20:23], 0 offen offset:16// 0000000036B0: E05C1010 8005C424
	buffer_load_dwordx4 v[200:203], v37, s[20:23], 0 offen     // 0000000036B8: E05C1000 8005C825
	buffer_load_dwordx4 v[204:207], v37, s[20:23], 0 offen offset:16// 0000000036C0: E05C1010 8005CC25
	s_add_u32 s20, s57, s20                                    // 0000000036C8: 80141439
	s_addc_u32 s21, 0, s21                                     // 0000000036CC: 82151580
	buffer_load_dwordx4 a[0:3], v38, s[24:27], 0 offen         // 0000000036D0: E05C1000 80860026
	buffer_load_dwordx4 a[4:7], v38, s[24:27], 0 offen offset:1024// 0000000036D8: E05C1400 80860426
	buffer_load_dwordx4 a[8:11], v39, s[24:27], 0 offen        // 0000000036E0: E05C1000 80860827
	buffer_load_dwordx4 a[12:15], v39, s[24:27], 0 offen offset:1024// 0000000036E8: E05C1400 80860C27
	buffer_load_dwordx4 a[16:19], v40, s[24:27], 0 offen       // 0000000036F0: E05C1000 80861028
	buffer_load_dwordx4 a[20:23], v40, s[24:27], 0 offen offset:1024// 0000000036F8: E05C1400 80861428
	buffer_load_dwordx4 a[24:27], v41, s[24:27], 0 offen       // 000000003700: E05C1000 80861829
	buffer_load_dwordx4 a[28:31], v41, s[24:27], 0 offen offset:1024// 000000003708: E05C1400 80861C29
	buffer_load_dwordx4 a[32:35], v38, s[24:27], 0 offen offset:2048// 000000003710: E05C1800 80862026
	buffer_load_dwordx4 a[36:39], v38, s[24:27], 0 offen offset:3072// 000000003718: E05C1C00 80862426
	buffer_load_dwordx4 a[40:43], v39, s[24:27], 0 offen offset:2048// 000000003720: E05C1800 80862827
	buffer_load_dwordx4 a[44:47], v39, s[24:27], 0 offen offset:3072// 000000003728: E05C1C00 80862C27
	buffer_load_dwordx4 a[48:51], v40, s[24:27], 0 offen offset:2048// 000000003730: E05C1800 80863028
	buffer_load_dwordx4 a[52:55], v40, s[24:27], 0 offen offset:3072// 000000003738: E05C1C00 80863428
	buffer_load_dwordx4 a[56:59], v41, s[24:27], 0 offen offset:2048// 000000003740: E05C1800 80863829
	buffer_load_dwordx4 a[60:63], v41, s[24:27], 0 offen offset:3072// 000000003748: E05C1C00 80863C29
	s_add_u32 s24, s58, s24                                    // 000000003750: 8018183A
	s_addc_u32 s25, 0, s25                                     // 000000003754: 82191980
	v_mov_b32_e32 v128, 0                                      // 000000003758: 7F000280
	v_mov_b32_e32 v64, 0                                       // 00000000375C: 7E800280
	v_mov_b32_e32 v129, 0                                      // 000000003760: 7F020280
	v_mov_b32_e32 v65, 0                                       // 000000003764: 7E820280
	v_mov_b32_e32 v130, 0                                      // 000000003768: 7F040280
	v_mov_b32_e32 v66, 0                                       // 00000000376C: 7E840280
	v_mov_b32_e32 v131, 0                                      // 000000003770: 7F060280
	v_mov_b32_e32 v67, 0                                       // 000000003774: 7E860280
	v_mov_b32_e32 v132, 0                                      // 000000003778: 7F080280
	v_mov_b32_e32 v68, 0                                       // 00000000377C: 7E880280
	v_mov_b32_e32 v133, 0                                      // 000000003780: 7F0A0280
	v_mov_b32_e32 v69, 0                                       // 000000003784: 7E8A0280
	v_mov_b32_e32 v134, 0                                      // 000000003788: 7F0C0280
	v_mov_b32_e32 v70, 0                                       // 00000000378C: 7E8C0280
	v_mov_b32_e32 v135, 0                                      // 000000003790: 7F0E0280
	v_mov_b32_e32 v71, 0                                       // 000000003794: 7E8E0280
	v_mov_b32_e32 v136, 0                                      // 000000003798: 7F100280
	v_mov_b32_e32 v72, 0                                       // 00000000379C: 7E900280
	v_mov_b32_e32 v137, 0                                      // 0000000037A0: 7F120280
	v_mov_b32_e32 v73, 0                                       // 0000000037A4: 7E920280
	v_mov_b32_e32 v138, 0                                      // 0000000037A8: 7F140280
	v_mov_b32_e32 v74, 0                                       // 0000000037AC: 7E940280
	v_mov_b32_e32 v139, 0                                      // 0000000037B0: 7F160280
	v_mov_b32_e32 v75, 0                                       // 0000000037B4: 7E960280
	v_mov_b32_e32 v140, 0                                      // 0000000037B8: 7F180280
	v_mov_b32_e32 v76, 0                                       // 0000000037BC: 7E980280
	v_mov_b32_e32 v141, 0                                      // 0000000037C0: 7F1A0280
	v_mov_b32_e32 v77, 0                                       // 0000000037C4: 7E9A0280
	v_mov_b32_e32 v142, 0                                      // 0000000037C8: 7F1C0280
	v_mov_b32_e32 v78, 0                                       // 0000000037CC: 7E9C0280
	v_mov_b32_e32 v143, 0                                      // 0000000037D0: 7F1E0280
	v_mov_b32_e32 v79, 0                                       // 0000000037D4: 7E9E0280
	v_mov_b32_e32 v144, 0                                      // 0000000037D8: 7F200280
	v_mov_b32_e32 v80, 0                                       // 0000000037DC: 7EA00280
	v_mov_b32_e32 v145, 0                                      // 0000000037E0: 7F220280
	v_mov_b32_e32 v81, 0                                       // 0000000037E4: 7EA20280
	v_mov_b32_e32 v146, 0                                      // 0000000037E8: 7F240280
	v_mov_b32_e32 v82, 0                                       // 0000000037EC: 7EA40280
	v_mov_b32_e32 v147, 0                                      // 0000000037F0: 7F260280
	v_mov_b32_e32 v83, 0                                       // 0000000037F4: 7EA60280
	v_mov_b32_e32 v148, 0                                      // 0000000037F8: 7F280280
	v_mov_b32_e32 v84, 0                                       // 0000000037FC: 7EA80280
	v_mov_b32_e32 v149, 0                                      // 000000003800: 7F2A0280
	v_mov_b32_e32 v85, 0                                       // 000000003804: 7EAA0280
	v_mov_b32_e32 v150, 0                                      // 000000003808: 7F2C0280
	v_mov_b32_e32 v86, 0                                       // 00000000380C: 7EAC0280
	v_mov_b32_e32 v151, 0                                      // 000000003810: 7F2E0280
	v_mov_b32_e32 v87, 0                                       // 000000003814: 7EAE0280
	v_mov_b32_e32 v152, 0                                      // 000000003818: 7F300280
	v_mov_b32_e32 v88, 0                                       // 00000000381C: 7EB00280
	v_mov_b32_e32 v153, 0                                      // 000000003820: 7F320280
	v_mov_b32_e32 v89, 0                                       // 000000003824: 7EB20280
	v_mov_b32_e32 v154, 0                                      // 000000003828: 7F340280
	v_mov_b32_e32 v90, 0                                       // 00000000382C: 7EB40280
	v_mov_b32_e32 v155, 0                                      // 000000003830: 7F360280
	v_mov_b32_e32 v91, 0                                       // 000000003834: 7EB60280
	v_mov_b32_e32 v156, 0                                      // 000000003838: 7F380280
	v_mov_b32_e32 v92, 0                                       // 00000000383C: 7EB80280
	v_mov_b32_e32 v157, 0                                      // 000000003840: 7F3A0280
	v_mov_b32_e32 v93, 0                                       // 000000003844: 7EBA0280
	v_mov_b32_e32 v158, 0                                      // 000000003848: 7F3C0280
	v_mov_b32_e32 v94, 0                                       // 00000000384C: 7EBC0280
	v_mov_b32_e32 v159, 0                                      // 000000003850: 7F3E0280
	v_mov_b32_e32 v95, 0                                       // 000000003854: 7EBE0280
	v_mov_b32_e32 v160, 0                                      // 000000003858: 7F400280
	v_mov_b32_e32 v96, 0                                       // 00000000385C: 7EC00280
	v_mov_b32_e32 v161, 0                                      // 000000003860: 7F420280
	v_mov_b32_e32 v97, 0                                       // 000000003864: 7EC20280
	v_mov_b32_e32 v162, 0                                      // 000000003868: 7F440280
	v_mov_b32_e32 v98, 0                                       // 00000000386C: 7EC40280
	v_mov_b32_e32 v163, 0                                      // 000000003870: 7F460280
	v_mov_b32_e32 v99, 0                                       // 000000003874: 7EC60280
	v_mov_b32_e32 v164, 0                                      // 000000003878: 7F480280
	v_mov_b32_e32 v100, 0                                      // 00000000387C: 7EC80280
	v_mov_b32_e32 v165, 0                                      // 000000003880: 7F4A0280
	v_mov_b32_e32 v101, 0                                      // 000000003884: 7ECA0280
	v_mov_b32_e32 v166, 0                                      // 000000003888: 7F4C0280
	v_mov_b32_e32 v102, 0                                      // 00000000388C: 7ECC0280
	v_mov_b32_e32 v167, 0                                      // 000000003890: 7F4E0280
	v_mov_b32_e32 v103, 0                                      // 000000003894: 7ECE0280
	v_mov_b32_e32 v168, 0                                      // 000000003898: 7F500280
	v_mov_b32_e32 v104, 0                                      // 00000000389C: 7ED00280
	v_mov_b32_e32 v169, 0                                      // 0000000038A0: 7F520280
	v_mov_b32_e32 v105, 0                                      // 0000000038A4: 7ED20280
	v_mov_b32_e32 v170, 0                                      // 0000000038A8: 7F540280
	v_mov_b32_e32 v106, 0                                      // 0000000038AC: 7ED40280
	v_mov_b32_e32 v171, 0                                      // 0000000038B0: 7F560280
	v_mov_b32_e32 v107, 0                                      // 0000000038B4: 7ED60280
	v_mov_b32_e32 v172, 0                                      // 0000000038B8: 7F580280
	v_mov_b32_e32 v108, 0                                      // 0000000038BC: 7ED80280
	v_mov_b32_e32 v173, 0                                      // 0000000038C0: 7F5A0280
	v_mov_b32_e32 v109, 0                                      // 0000000038C4: 7EDA0280
	v_mov_b32_e32 v174, 0                                      // 0000000038C8: 7F5C0280
	v_mov_b32_e32 v110, 0                                      // 0000000038CC: 7EDC0280
	v_mov_b32_e32 v175, 0                                      // 0000000038D0: 7F5E0280
	v_mov_b32_e32 v111, 0                                      // 0000000038D4: 7EDE0280
	v_mov_b32_e32 v176, 0                                      // 0000000038D8: 7F600280
	v_mov_b32_e32 v112, 0                                      // 0000000038DC: 7EE00280
	v_mov_b32_e32 v177, 0                                      // 0000000038E0: 7F620280
	v_mov_b32_e32 v113, 0                                      // 0000000038E4: 7EE20280
	v_mov_b32_e32 v178, 0                                      // 0000000038E8: 7F640280
	v_mov_b32_e32 v114, 0                                      // 0000000038EC: 7EE40280
	v_mov_b32_e32 v179, 0                                      // 0000000038F0: 7F660280
	v_mov_b32_e32 v115, 0                                      // 0000000038F4: 7EE60280
	v_mov_b32_e32 v180, 0                                      // 0000000038F8: 7F680280
	v_mov_b32_e32 v116, 0                                      // 0000000038FC: 7EE80280
	v_mov_b32_e32 v181, 0                                      // 000000003900: 7F6A0280
	v_mov_b32_e32 v117, 0                                      // 000000003904: 7EEA0280
	v_mov_b32_e32 v182, 0                                      // 000000003908: 7F6C0280
	v_mov_b32_e32 v118, 0                                      // 00000000390C: 7EEC0280
	v_mov_b32_e32 v183, 0                                      // 000000003910: 7F6E0280
	v_mov_b32_e32 v119, 0                                      // 000000003914: 7EEE0280
	v_mov_b32_e32 v184, 0                                      // 000000003918: 7F700280
	v_mov_b32_e32 v120, 0                                      // 00000000391C: 7EF00280
	v_mov_b32_e32 v185, 0                                      // 000000003920: 7F720280
	v_mov_b32_e32 v121, 0                                      // 000000003924: 7EF20280
	v_mov_b32_e32 v186, 0                                      // 000000003928: 7F740280
	v_mov_b32_e32 v122, 0                                      // 00000000392C: 7EF40280
	v_mov_b32_e32 v187, 0                                      // 000000003930: 7F760280
	v_mov_b32_e32 v123, 0                                      // 000000003934: 7EF60280
	v_mov_b32_e32 v188, 0                                      // 000000003938: 7F780280
	v_mov_b32_e32 v124, 0                                      // 00000000393C: 7EF80280
	v_mov_b32_e32 v189, 0                                      // 000000003940: 7F7A0280
	v_mov_b32_e32 v125, 0                                      // 000000003944: 7EFA0280
	v_mov_b32_e32 v190, 0                                      // 000000003948: 7F7C0280
	v_mov_b32_e32 v126, 0                                      // 00000000394C: 7EFC0280
	v_mov_b32_e32 v191, 0                                      // 000000003950: 7F7E0280
	v_mov_b32_e32 v127, 0                                      // 000000003954: 7EFE0280
	v_lshrrev_b32_e32 v50, 4, v0                               // 000000003958: 20640084
	v_mul_lo_u32 v4, 34, v50                                   // 00000000395C: D2850004 000264A2
	v_and_b32_e32 v50, 15, v0                                  // 000000003964: 2664008F
	v_mul_lo_u32 v51, 2, v50                                   // 000000003968: D2850033 00026482
	v_add_u32_e32 v4, v51, v4                                  // 000000003970: 68080933
	s_mul_i32 s60, s7, 0x88                                    // 000000003974: 923CFF07 00000088
	v_add_u32_e32 v4, s60, v4                                  // 00000000397C: 6808083C
	v_lshlrev_b32_e32 v4, 2, v4                                // 000000003980: 24080882
	v_lshrrev_b32_e32 v50, 1, v0                               // 000000003984: 20640081
	v_mul_lo_u32 v5, 34, v50                                   // 000000003988: D2850005 000264A2
	v_and_b32_e32 v51, 1, v0                                   // 000000003990: 26660081
	v_add_u32_e32 v5, v51, v5                                  // 000000003994: 680A0B33
	s_mov_b32 s60, 0                                           // 000000003998: BEBC0080
	s_lshr_b32 s61, s7, 1                                      // 00000000399C: 8F3D8107
	s_mul_i32 s61, s61, 8                                      // 0000000039A0: 923D883D
	s_add_u32 s60, s61, s60                                    // 0000000039A4: 803C3C3D
	s_and_b32 s61, s7, 1                                       // 0000000039A8: 863D8107
	s_mul_i32 s61, s61, 2                                      // 0000000039AC: 923D823D
	s_add_u32 s60, s61, s60                                    // 0000000039B0: 803C3C3D
	s_mul_i32 s60, 2, s60                                      // 0000000039B4: 923C3C82
	v_add_u32_e32 v5, s60, v5                                  // 0000000039B8: 680A0A3C
	v_lshlrev_b32_e32 v5, 2, v5                                // 0000000039BC: 240A0A82
	s_waitcnt vmcnt(16)                                        // 0000000039C0: BF8C4F70
	v_mov_b32_e32 v28, 0x358637bd                              // 0000000039C4: 7E3802FF 358637BD
	v_lshlrev_b32_e32 v50, 16, v192                            // 0000000039CC: 24658090
	v_and_b32_e32 v51, 0xffff0000, v192                        // 0000000039D0: 266780FF FFFF0000
	v_max3_f32 v28, |v51|, |v50|, v28                          // 0000000039D8: D1D3031C 04726533
	v_lshlrev_b32_e32 v50, 16, v193                            // 0000000039E0: 24658290
	v_and_b32_e32 v51, 0xffff0000, v193                        // 0000000039E4: 266782FF FFFF0000
	v_max3_f32 v28, |v51|, |v50|, v28                          // 0000000039EC: D1D3031C 04726533
	v_lshlrev_b32_e32 v50, 16, v194                            // 0000000039F4: 24658490
	v_and_b32_e32 v51, 0xffff0000, v194                        // 0000000039F8: 266784FF FFFF0000
	v_max3_f32 v28, |v51|, |v50|, v28                          // 000000003A00: D1D3031C 04726533
	v_lshlrev_b32_e32 v50, 16, v195                            // 000000003A08: 24658690
	v_and_b32_e32 v51, 0xffff0000, v195                        // 000000003A0C: 266786FF FFFF0000
	v_max3_f32 v28, |v51|, |v50|, v28                          // 000000003A14: D1D3031C 04726533
	v_lshlrev_b32_e32 v50, 16, v196                            // 000000003A1C: 24658890
	v_and_b32_e32 v51, 0xffff0000, v196                        // 000000003A20: 266788FF FFFF0000
	v_max3_f32 v28, |v51|, |v50|, v28                          // 000000003A28: D1D3031C 04726533
	v_lshlrev_b32_e32 v50, 16, v197                            // 000000003A30: 24658A90
	v_and_b32_e32 v51, 0xffff0000, v197                        // 000000003A34: 26678AFF FFFF0000
	v_max3_f32 v28, |v51|, |v50|, v28                          // 000000003A3C: D1D3031C 04726533
	v_lshlrev_b32_e32 v50, 16, v198                            // 000000003A44: 24658C90
	v_and_b32_e32 v51, 0xffff0000, v198                        // 000000003A48: 26678CFF FFFF0000
	v_max3_f32 v28, |v51|, |v50|, v28                          // 000000003A50: D1D3031C 04726533
	v_lshlrev_b32_e32 v50, 16, v199                            // 000000003A58: 24658E90
	v_and_b32_e32 v51, 0xffff0000, v199                        // 000000003A5C: 26678EFF FFFF0000
	v_max3_f32 v28, |v51|, |v50|, v28                          // 000000003A64: D1D3031C 04726533
	s_barrier                                                  // 000000003A6C: BF8A0000
	v_max_f32_dpp v29, v28, v28 quad_perm:[1,2,3,0] row_mask:0xf bank_mask:0xf// 000000003A70: 163A38FA FF00391C
	s_nop 1                                                    // 000000003A78: BF800001
	v_max_f32_dpp v50, v29, v29 quad_perm:[2,3,0,1] row_mask:0xf bank_mask:0xf// 000000003A7C: 16643AFA FF004E1D
	s_nop 1                                                    // 000000003A84: BF800001
	v_max_f32_dpp v28, v50, v50 row_half_mirror row_mask:0xf bank_mask:0xf// 000000003A88: 163864FA FF014132
	s_mov_b32 s60, 0x43e00000                                  // 000000003A90: BEBC00FF 43E00000
	s_mov_b32 s61, 0x3b124925                                  // 000000003A98: BEBD00FF 3B124925
	s_mov_b32 s62, 0xc3e00000                                  // 000000003AA0: BEBE00FF C3E00000
	v_rcp_f32_e32 v50, v28                                     // 000000003AA8: 7E64451C
	v_mul_f32_e32 v32, s61, v28                                // 000000003AAC: 0A40383D
	v_fma_f32 v51, v32, s62, v28                               // 000000003AB0: D1CB0033 04707D20
	v_fma_f32 v32, v51, s61, v32                               // 000000003AB8: D1CB0020 04807B33
	v_mul_f32_e32 v29, s60, v50                                // 000000003AC0: 0A3A643C
	v_xor_b32_e32 v51, 0x80000000, v28                         // 000000003AC4: 2A6638FF 80000000
	v_fma_f32 v51, v51, v29, s60                               // 000000003ACC: D1CB0033 00F23B33
	v_fma_f32 v28, v51, v50, v29                               // 000000003AD4: D1CB001C 04766533
	v_mov_b32_e32 v29, v28                                     // 000000003ADC: 7E3A031C
	v_lshlrev_b32_e32 v50, 16, v192                            // 000000003AE0: 24658090
	v_and_b32_e32 v51, 0xffff0000, v192                        // 000000003AE4: 266780FF FFFF0000
	v_pk_mul_f32 v[50:51], v[50:51], v[28:29]                  // 000000003AEC: D3B14032 18023932
	v_cvt_pk_fp8_f32 v192, v50, v51                            // 000000003AF4: D2A200C0 00026732
	v_lshlrev_b32_e32 v50, 16, v193                            // 000000003AFC: 24658290
	v_and_b32_e32 v51, 0xffff0000, v193                        // 000000003B00: 266782FF FFFF0000
	v_pk_mul_f32 v[50:51], v[50:51], v[28:29]                  // 000000003B08: D3B14032 18023932
	v_cvt_pk_fp8_f32 v192, v50, v51 op_sel:[0,0,1]             // 000000003B10: D2A240C0 00026732
	v_lshlrev_b32_e32 v50, 16, v194                            // 000000003B18: 24658490
	v_and_b32_e32 v51, 0xffff0000, v194                        // 000000003B1C: 266784FF FFFF0000
	v_pk_mul_f32 v[50:51], v[50:51], v[28:29]                  // 000000003B24: D3B14032 18023932
	v_cvt_pk_fp8_f32 v193, v50, v51                            // 000000003B2C: D2A200C1 00026732
	v_lshlrev_b32_e32 v50, 16, v195                            // 000000003B34: 24658690
	v_and_b32_e32 v51, 0xffff0000, v195                        // 000000003B38: 266786FF FFFF0000
	v_pk_mul_f32 v[50:51], v[50:51], v[28:29]                  // 000000003B40: D3B14032 18023932
	v_cvt_pk_fp8_f32 v193, v50, v51 op_sel:[0,0,1]             // 000000003B48: D2A240C1 00026732
	v_lshlrev_b32_e32 v50, 16, v196                            // 000000003B50: 24658890
	v_and_b32_e32 v51, 0xffff0000, v196                        // 000000003B54: 266788FF FFFF0000
	v_pk_mul_f32 v[50:51], v[50:51], v[28:29]                  // 000000003B5C: D3B14032 18023932
	v_cvt_pk_fp8_f32 v194, v50, v51                            // 000000003B64: D2A200C2 00026732
	v_lshlrev_b32_e32 v50, 16, v197                            // 000000003B6C: 24658A90
	v_and_b32_e32 v51, 0xffff0000, v197                        // 000000003B70: 26678AFF FFFF0000
	v_pk_mul_f32 v[50:51], v[50:51], v[28:29]                  // 000000003B78: D3B14032 18023932
	v_cvt_pk_fp8_f32 v194, v50, v51 op_sel:[0,0,1]             // 000000003B80: D2A240C2 00026732
	v_lshlrev_b32_e32 v50, 16, v198                            // 000000003B88: 24658C90
	v_and_b32_e32 v51, 0xffff0000, v198                        // 000000003B8C: 26678CFF FFFF0000
	v_pk_mul_f32 v[50:51], v[50:51], v[28:29]                  // 000000003B94: D3B14032 18023932
	v_cvt_pk_fp8_f32 v195, v50, v51                            // 000000003B9C: D2A200C3 00026732
	v_lshlrev_b32_e32 v50, 16, v199                            // 000000003BA4: 24658E90
	v_and_b32_e32 v51, 0xffff0000, v199                        // 000000003BA8: 26678EFF FFFF0000
	v_pk_mul_f32 v[50:51], v[50:51], v[28:29]                  // 000000003BB0: D3B14032 18023932
	v_cvt_pk_fp8_f32 v195, v50, v51 op_sel:[0,0,1]             // 000000003BB8: D2A240C3 00026732
	v_lshlrev_b32_e32 v50, 4, v0                               // 000000003BC0: 24640084
	v_add_u32_e64 v50, v50, s50                                // 000000003BC4: D1340032 00006532
	ds_write_b128 v50, v[192:195]                              // 000000003BCC: D9BE0000 0000C032
	v_add_u32_e32 v50, 0, v33                                  // 000000003BD4: 68644280
	s_mov_b64 s[60:61], exec                                   // 000000003BD8: BEBC017E
	s_mov_b32 s62, 0xf0f0f0f                                   // 000000003BDC: BEBE00FF 0F0F0F0F
	s_mov_b32 s63, 0xf0f0f0f                                   // 000000003BE4: BEBF00FF 0F0F0F0F
	s_mov_b64 exec, s[62:63]                                   // 000000003BEC: BEFE013E
	ds_write_b32 v50, v32 offset:8448                          // 000000003BF0: D81A2100 00002032
	s_mov_b64 exec, s[60:61]                                   // 000000003BF8: BEFE013C
	s_waitcnt vmcnt(16)                                        // 000000003BFC: BF8C4F70
	v_mov_b32_e32 v28, 0x358637bd                              // 000000003C00: 7E3802FF 358637BD
	v_lshlrev_b32_e32 v50, 16, v200                            // 000000003C08: 24659090
	v_and_b32_e32 v51, 0xffff0000, v200                        // 000000003C0C: 266790FF FFFF0000
	v_max3_f32 v28, |v51|, |v50|, v28                          // 000000003C14: D1D3031C 04726533
	v_lshlrev_b32_e32 v50, 16, v201                            // 000000003C1C: 24659290
	v_and_b32_e32 v51, 0xffff0000, v201                        // 000000003C20: 266792FF FFFF0000
	v_max3_f32 v28, |v51|, |v50|, v28                          // 000000003C28: D1D3031C 04726533
	v_lshlrev_b32_e32 v50, 16, v202                            // 000000003C30: 24659490
	v_and_b32_e32 v51, 0xffff0000, v202                        // 000000003C34: 266794FF FFFF0000
	v_max3_f32 v28, |v51|, |v50|, v28                          // 000000003C3C: D1D3031C 04726533
	v_lshlrev_b32_e32 v50, 16, v203                            // 000000003C44: 24659690
	v_and_b32_e32 v51, 0xffff0000, v203                        // 000000003C48: 266796FF FFFF0000
	v_max3_f32 v28, |v51|, |v50|, v28                          // 000000003C50: D1D3031C 04726533
	v_lshlrev_b32_e32 v50, 16, v204                            // 000000003C58: 24659890
	v_and_b32_e32 v51, 0xffff0000, v204                        // 000000003C5C: 266798FF FFFF0000
	v_max3_f32 v28, |v51|, |v50|, v28                          // 000000003C64: D1D3031C 04726533
	v_lshlrev_b32_e32 v50, 16, v205                            // 000000003C6C: 24659A90
	v_and_b32_e32 v51, 0xffff0000, v205                        // 000000003C70: 26679AFF FFFF0000
	v_max3_f32 v28, |v51|, |v50|, v28                          // 000000003C78: D1D3031C 04726533
	v_lshlrev_b32_e32 v50, 16, v206                            // 000000003C80: 24659C90
	v_and_b32_e32 v51, 0xffff0000, v206                        // 000000003C84: 26679CFF FFFF0000
	v_max3_f32 v28, |v51|, |v50|, v28                          // 000000003C8C: D1D3031C 04726533
	v_lshlrev_b32_e32 v50, 16, v207                            // 000000003C94: 24659E90
	v_and_b32_e32 v51, 0xffff0000, v207                        // 000000003C98: 26679EFF FFFF0000
	v_max3_f32 v28, |v51|, |v50|, v28                          // 000000003CA0: D1D3031C 04726533
	s_barrier                                                  // 000000003CA8: BF8A0000
	v_max_f32_dpp v29, v28, v28 quad_perm:[1,2,3,0] row_mask:0xf bank_mask:0xf// 000000003CAC: 163A38FA FF00391C
	s_nop 1                                                    // 000000003CB4: BF800001
	v_max_f32_dpp v50, v29, v29 quad_perm:[2,3,0,1] row_mask:0xf bank_mask:0xf// 000000003CB8: 16643AFA FF004E1D
	s_nop 1                                                    // 000000003CC0: BF800001
	v_max_f32_dpp v28, v50, v50 row_half_mirror row_mask:0xf bank_mask:0xf// 000000003CC4: 163864FA FF014132
	s_mov_b32 s60, 0x43e00000                                  // 000000003CCC: BEBC00FF 43E00000
	s_mov_b32 s61, 0x3b124925                                  // 000000003CD4: BEBD00FF 3B124925
	s_mov_b32 s62, 0xc3e00000                                  // 000000003CDC: BEBE00FF C3E00000
	v_rcp_f32_e32 v50, v28                                     // 000000003CE4: 7E64451C
	v_mul_f32_e32 v32, s61, v28                                // 000000003CE8: 0A40383D
	v_fma_f32 v51, v32, s62, v28                               // 000000003CEC: D1CB0033 04707D20
	v_fma_f32 v32, v51, s61, v32                               // 000000003CF4: D1CB0020 04807B33
	v_mul_f32_e32 v29, s60, v50                                // 000000003CFC: 0A3A643C
	v_xor_b32_e32 v51, 0x80000000, v28                         // 000000003D00: 2A6638FF 80000000
	v_fma_f32 v51, v51, v29, s60                               // 000000003D08: D1CB0033 00F23B33
	v_fma_f32 v28, v51, v50, v29                               // 000000003D10: D1CB001C 04766533
	v_mov_b32_e32 v29, v28                                     // 000000003D18: 7E3A031C
	v_lshlrev_b32_e32 v50, 16, v200                            // 000000003D1C: 24659090
	v_and_b32_e32 v51, 0xffff0000, v200                        // 000000003D20: 266790FF FFFF0000
	v_pk_mul_f32 v[50:51], v[50:51], v[28:29]                  // 000000003D28: D3B14032 18023932
	v_cvt_pk_fp8_f32 v200, v50, v51                            // 000000003D30: D2A200C8 00026732
	v_lshlrev_b32_e32 v50, 16, v201                            // 000000003D38: 24659290
	v_and_b32_e32 v51, 0xffff0000, v201                        // 000000003D3C: 266792FF FFFF0000
	v_pk_mul_f32 v[50:51], v[50:51], v[28:29]                  // 000000003D44: D3B14032 18023932
	v_cvt_pk_fp8_f32 v200, v50, v51 op_sel:[0,0,1]             // 000000003D4C: D2A240C8 00026732
	v_lshlrev_b32_e32 v50, 16, v202                            // 000000003D54: 24659490
	v_and_b32_e32 v51, 0xffff0000, v202                        // 000000003D58: 266794FF FFFF0000
	v_pk_mul_f32 v[50:51], v[50:51], v[28:29]                  // 000000003D60: D3B14032 18023932
	v_cvt_pk_fp8_f32 v201, v50, v51                            // 000000003D68: D2A200C9 00026732
	v_lshlrev_b32_e32 v50, 16, v203                            // 000000003D70: 24659690
	v_and_b32_e32 v51, 0xffff0000, v203                        // 000000003D74: 266796FF FFFF0000
	v_pk_mul_f32 v[50:51], v[50:51], v[28:29]                  // 000000003D7C: D3B14032 18023932
	v_cvt_pk_fp8_f32 v201, v50, v51 op_sel:[0,0,1]             // 000000003D84: D2A240C9 00026732
	v_lshlrev_b32_e32 v50, 16, v204                            // 000000003D8C: 24659890
	v_and_b32_e32 v51, 0xffff0000, v204                        // 000000003D90: 266798FF FFFF0000
	v_pk_mul_f32 v[50:51], v[50:51], v[28:29]                  // 000000003D98: D3B14032 18023932
	v_cvt_pk_fp8_f32 v202, v50, v51                            // 000000003DA0: D2A200CA 00026732
	v_lshlrev_b32_e32 v50, 16, v205                            // 000000003DA8: 24659A90
	v_and_b32_e32 v51, 0xffff0000, v205                        // 000000003DAC: 26679AFF FFFF0000
	v_pk_mul_f32 v[50:51], v[50:51], v[28:29]                  // 000000003DB4: D3B14032 18023932
	v_cvt_pk_fp8_f32 v202, v50, v51 op_sel:[0,0,1]             // 000000003DBC: D2A240CA 00026732
	v_lshlrev_b32_e32 v50, 16, v206                            // 000000003DC4: 24659C90
	v_and_b32_e32 v51, 0xffff0000, v206                        // 000000003DC8: 26679CFF FFFF0000
	v_pk_mul_f32 v[50:51], v[50:51], v[28:29]                  // 000000003DD0: D3B14032 18023932
	v_cvt_pk_fp8_f32 v203, v50, v51                            // 000000003DD8: D2A200CB 00026732
	v_lshlrev_b32_e32 v50, 16, v207                            // 000000003DE0: 24659E90
	v_and_b32_e32 v51, 0xffff0000, v207                        // 000000003DE4: 26679EFF FFFF0000
	v_pk_mul_f32 v[50:51], v[50:51], v[28:29]                  // 000000003DEC: D3B14032 18023932
	v_cvt_pk_fp8_f32 v203, v50, v51 op_sel:[0,0,1]             // 000000003DF4: D2A240CB 00026732
	v_lshlrev_b32_e32 v50, 4, v0                               // 000000003DFC: 24640084
	v_add_u32_e64 v50, v50, s50                                // 000000003E00: D1340032 00006532
	ds_write_b128 v50, v[200:203] offset:4224                  // 000000003E08: D9BE1080 0000C832
	v_add_u32_e32 v50, 0x200, v33                              // 000000003E10: 686442FF 00000200
	s_mov_b64 s[60:61], exec                                   // 000000003E18: BEBC017E
	s_mov_b32 s62, 0xf0f0f0f                                   // 000000003E1C: BEBE00FF 0F0F0F0F
	s_mov_b32 s63, 0xf0f0f0f                                   // 000000003E24: BEBF00FF 0F0F0F0F
	s_mov_b64 exec, s[62:63]                                   // 000000003E2C: BEFE013E
	ds_write_b32 v50, v32 offset:8448                          // 000000003E30: D81A2100 00002032
	s_mov_b64 exec, s[60:61]                                   // 000000003E38: BEFE013C
	s_waitcnt lgkmcnt(0)                                       // 000000003E3C: BF8CC07F
	s_barrier                                                  // 000000003E40: BF8A0000
	ds_read_b128 v[192:195], v2                                // 000000003E44: D9FE0000 C0000002
	ds_read_b128 v[196:199], v2 offset:64                      // 000000003E4C: D9FE0040 C4000002
	ds_read_b128 v[200:203], v2 offset:4224                    // 000000003E54: D9FE1080 C8000002
	ds_read_b128 v[204:207], v2 offset:4288                    // 000000003E5C: D9FE10C0 CC000002
	ds_read_b128 v[208:211], v2 offset:512                     // 000000003E64: D9FE0200 D0000002
	ds_read_b128 v[212:215], v2 offset:576                     // 000000003E6C: D9FE0240 D4000002
	ds_read_b128 v[216:219], v2 offset:4736                    // 000000003E74: D9FE1280 D8000002
	ds_read_b128 v[220:223], v2 offset:4800                    // 000000003E7C: D9FE12C0 DC000002
	ds_read_b32 v15, v3 offset:8448                            // 000000003E84: D86C2100 0F000003
	ds_read_b32 v16, v3 offset:8704                            // 000000003E8C: D86C2200 10000003
	ds_read_b32 v17, v3 offset:8960                            // 000000003E94: D86C2300 11000003
	ds_read_b32 v18, v3 offset:9216                            // 000000003E9C: D86C2400 12000003
	s_cmp_lt_i32 s7, 2                                         // 000000003EA4: BF048207
	s_cbranch_scc0 label_0EFE                                  // 000000003EA8: BF840AD3

0000000000003eac <label_042B>:
	s_waitcnt vmcnt(12) lgkmcnt(0)                             // 000000003EAC: BF8C007C
	s_barrier                                                  // 000000003EB0: BF8A0000
	v_mfma_f32_16x16x128_f8f6f4 v[160:163], a[0:7], v[192:199], 0// 000000003EB4: D3AD00A0 0A038100
	v_mfma_f32_16x16x128_f8f6f4 v[164:167], a[0:7], v[208:215], 0// 000000003EBC: D3AD00A4 0A03A100
	buffer_load_dword v24, v13, s[32:35], 0 offen              // 000000003EC4: E0501000 8008180D
	buffer_load_dwordx4 a[64:67], v38, s[92:95], 0 offen       // 000000003ECC: E05C1000 80974026
	buffer_load_dwordx4 a[68:71], v38, s[92:95], 0 offen offset:1024// 000000003ED4: E05C1400 80974426
	v_mfma_f32_16x16x128_f8f6f4 v[168:171], a[8:15], v[192:199], 0// 000000003EDC: D3AD00A8 0A038108
	v_mfma_f32_16x16x128_f8f6f4 v[172:175], a[8:15], v[208:215], 0// 000000003EE4: D3AD00AC 0A03A108
	buffer_load_dwordx4 a[72:75], v39, s[92:95], 0 offen       // 000000003EEC: E05C1000 80974827
	buffer_load_dwordx4 a[76:79], v39, s[92:95], 0 offen offset:1024// 000000003EF4: E05C1400 80974C27
	buffer_load_dwordx4 v[224:227], v36, s[20:23], 0 offen     // 000000003EFC: E05C1000 8005E024
	buffer_load_dwordx4 v[228:231], v36, s[20:23], 0 offen offset:16// 000000003F04: E05C1010 8005E424
	buffer_load_dwordx4 v[232:235], v37, s[20:23], 0 offen     // 000000003F0C: E05C1000 8005E825
	buffer_load_dwordx4 v[236:239], v37, s[20:23], 0 offen offset:16// 000000003F14: E05C1010 8005EC25
	s_waitcnt vmcnt(17)                                        // 000000003F1C: BF8C4F71
	v_mfma_f32_16x16x128_f8f6f4 v[176:179], a[16:23], v[192:199], 0// 000000003F20: D3AD00B0 0A038110
	v_mfma_f32_16x16x128_f8f6f4 v[180:183], a[16:23], v[208:215], 0// 000000003F28: D3AD00B4 0A03A110
	buffer_load_dwordx4 a[80:83], v40, s[92:95], 0 offen       // 000000003F30: E05C1000 80975028
	buffer_load_dwordx4 a[84:87], v40, s[92:95], 0 offen offset:1024// 000000003F38: E05C1400 80975428
	v_mfma_f32_16x16x128_f8f6f4 v[184:187], a[24:31], v[192:199], 0// 000000003F40: D3AD00B8 0A038118
	v_mfma_f32_16x16x128_f8f6f4 v[188:191], a[24:31], v[208:215], 0// 000000003F48: D3AD00BC 0A03A118
	buffer_load_dwordx4 a[88:91], v41, s[92:95], 0 offen       // 000000003F50: E05C1000 80975829
	buffer_load_dwordx4 a[92:95], v41, s[92:95], 0 offen offset:1024// 000000003F58: E05C1400 80975C29
	v_mul_f32_dpp v50, v23, v15 row_newbcast:0 row_mask:0xf bank_mask:0xf// 000000003F60: 0A641EFA FF015017
	v_mov_b32_e32 v51, v50                                     // 000000003F68: 7E660332
	v_pk_fma_f32 v[128:129], v[160:161], v[50:51], v[128:129]  // 000000003F6C: D3B04080 1E0265A0
	v_pk_fma_f32 v[130:131], v[162:163], v[50:51], v[130:131]  // 000000003F74: D3B04082 1E0A65A2
	v_pk_fma_f32 v[136:137], v[168:169], v[50:51], v[136:137]  // 000000003F7C: D3B04088 1E2265A8
	v_pk_fma_f32 v[138:139], v[170:171], v[50:51], v[138:139]  // 000000003F84: D3B0408A 1E2A65AA
	v_mul_f32_dpp v50, v23, v15 row_newbcast:1 row_mask:0xf bank_mask:0xf// 000000003F8C: 0A641EFA FF015117
	v_mov_b32_e32 v51, v50                                     // 000000003F94: 7E660332
	v_pk_fma_f32 v[144:145], v[176:177], v[50:51], v[144:145]  // 000000003F98: D3B04090 1E4265B0
	v_pk_fma_f32 v[146:147], v[178:179], v[50:51], v[146:147]  // 000000003FA0: D3B04092 1E4A65B2
	v_pk_fma_f32 v[152:153], v[184:185], v[50:51], v[152:153]  // 000000003FA8: D3B04098 1E6265B8
	v_pk_fma_f32 v[154:155], v[186:187], v[50:51], v[154:155]  // 000000003FB0: D3B0409A 1E6A65BA
	v_mul_f32_dpp v50, v23, v16 row_newbcast:0 row_mask:0xf bank_mask:0xf// 000000003FB8: 0A6420FA FF015017
	v_mov_b32_e32 v51, v50                                     // 000000003FC0: 7E660332
	v_pk_fma_f32 v[132:133], v[164:165], v[50:51], v[132:133]  // 000000003FC4: D3B04084 1E1265A4
	v_pk_fma_f32 v[134:135], v[166:167], v[50:51], v[134:135]  // 000000003FCC: D3B04086 1E1A65A6
	v_pk_fma_f32 v[140:141], v[172:173], v[50:51], v[140:141]  // 000000003FD4: D3B0408C 1E3265AC
	v_pk_fma_f32 v[142:143], v[174:175], v[50:51], v[142:143]  // 000000003FDC: D3B0408E 1E3A65AE
	v_mul_f32_dpp v50, v23, v16 row_newbcast:1 row_mask:0xf bank_mask:0xf// 000000003FE4: 0A6420FA FF015117
	v_mov_b32_e32 v51, v50                                     // 000000003FEC: 7E660332
	v_pk_fma_f32 v[148:149], v[180:181], v[50:51], v[148:149]  // 000000003FF0: D3B04094 1E5265B4
	v_pk_fma_f32 v[150:151], v[182:183], v[50:51], v[150:151]  // 000000003FF8: D3B04096 1E5A65B6
	v_pk_fma_f32 v[156:157], v[188:189], v[50:51], v[156:157]  // 000000004000: D3B0409C 1E7265BC
	v_pk_fma_f32 v[158:159], v[190:191], v[50:51], v[158:159]  // 000000004008: D3B0409E 1E7A65BE
	s_waitcnt vmcnt(17)                                        // 000000004010: BF8C4F71
	v_mfma_f32_16x16x128_f8f6f4 v[160:163], a[32:39], v[200:207], 0// 000000004014: D3AD00A0 0A039120
	v_mfma_f32_16x16x128_f8f6f4 v[164:167], a[32:39], v[216:223], 0// 00000000401C: D3AD00A4 0A03B120
	buffer_load_dwordx4 a[96:99], v38, s[92:95], 0 offen offset:2048// 000000004024: E05C1800 80976026
	buffer_load_dwordx4 a[100:103], v38, s[92:95], 0 offen offset:3072// 00000000402C: E05C1C00 80976426
	v_mfma_f32_16x16x128_f8f6f4 v[168:171], a[40:47], v[200:207], 0// 000000004034: D3AD00A8 0A039128
	v_mfma_f32_16x16x128_f8f6f4 v[172:175], a[40:47], v[216:223], 0// 00000000403C: D3AD00AC 0A03B128
	buffer_load_dwordx4 a[104:107], v39, s[92:95], 0 offen offset:2048// 000000004044: E05C1800 80976827
	buffer_load_dwordx4 a[108:111], v39, s[92:95], 0 offen offset:3072// 00000000404C: E05C1C00 80976C27
	s_waitcnt vmcnt(17)                                        // 000000004054: BF8C4F71
	v_mfma_f32_16x16x128_f8f6f4 v[176:179], a[48:55], v[200:207], 0// 000000004058: D3AD00B0 0A039130
	v_mfma_f32_16x16x128_f8f6f4 v[180:183], a[48:55], v[216:223], 0// 000000004060: D3AD00B4 0A03B130
	buffer_load_dwordx4 a[112:115], v40, s[92:95], 0 offen offset:2048// 000000004068: E05C1800 80977028
	buffer_load_dwordx4 a[116:119], v40, s[92:95], 0 offen offset:3072// 000000004070: E05C1C00 80977428
	v_mfma_f32_16x16x128_f8f6f4 v[184:187], a[56:63], v[200:207], 0// 000000004078: D3AD00B8 0A039138
	v_mfma_f32_16x16x128_f8f6f4 v[188:191], a[56:63], v[216:223], 0// 000000004080: D3AD00BC 0A03B138
	buffer_load_dwordx4 a[120:123], v41, s[92:95], 0 offen offset:2048// 000000004088: E05C1800 80977829
	buffer_load_dwordx4 a[124:127], v41, s[92:95], 0 offen offset:3072// 000000004090: E05C1C00 80977C29
	v_mul_f32_dpp v50, v23, v17 row_newbcast:2 row_mask:0xf bank_mask:0xf// 000000004098: 0A6422FA FF015217
	v_mov_b32_e32 v51, v50                                     // 0000000040A0: 7E660332
	v_pk_fma_f32 v[128:129], v[160:161], v[50:51], v[128:129]  // 0000000040A4: D3B04080 1E0265A0
	v_pk_fma_f32 v[130:131], v[162:163], v[50:51], v[130:131]  // 0000000040AC: D3B04082 1E0A65A2
	v_pk_fma_f32 v[136:137], v[168:169], v[50:51], v[136:137]  // 0000000040B4: D3B04088 1E2265A8
	v_pk_fma_f32 v[138:139], v[170:171], v[50:51], v[138:139]  // 0000000040BC: D3B0408A 1E2A65AA
	v_mul_f32_dpp v50, v23, v17 row_newbcast:3 row_mask:0xf bank_mask:0xf// 0000000040C4: 0A6422FA FF015317
	v_mov_b32_e32 v51, v50                                     // 0000000040CC: 7E660332
	v_pk_fma_f32 v[144:145], v[176:177], v[50:51], v[144:145]  // 0000000040D0: D3B04090 1E4265B0
	v_pk_fma_f32 v[146:147], v[178:179], v[50:51], v[146:147]  // 0000000040D8: D3B04092 1E4A65B2
	v_pk_fma_f32 v[152:153], v[184:185], v[50:51], v[152:153]  // 0000000040E0: D3B04098 1E6265B8
	v_pk_fma_f32 v[154:155], v[186:187], v[50:51], v[154:155]  // 0000000040E8: D3B0409A 1E6A65BA
	v_mul_f32_dpp v50, v23, v18 row_newbcast:2 row_mask:0xf bank_mask:0xf// 0000000040F0: 0A6424FA FF015217
	v_mov_b32_e32 v51, v50                                     // 0000000040F8: 7E660332
	v_pk_fma_f32 v[132:133], v[164:165], v[50:51], v[132:133]  // 0000000040FC: D3B04084 1E1265A4
	v_pk_fma_f32 v[134:135], v[166:167], v[50:51], v[134:135]  // 000000004104: D3B04086 1E1A65A6
	v_pk_fma_f32 v[140:141], v[172:173], v[50:51], v[140:141]  // 00000000410C: D3B0408C 1E3265AC
	v_pk_fma_f32 v[142:143], v[174:175], v[50:51], v[142:143]  // 000000004114: D3B0408E 1E3A65AE
	v_mul_f32_dpp v50, v23, v18 row_newbcast:3 row_mask:0xf bank_mask:0xf// 00000000411C: 0A6424FA FF015317
	v_mov_b32_e32 v51, v50                                     // 000000004124: 7E660332
	v_pk_fma_f32 v[148:149], v[180:181], v[50:51], v[148:149]  // 000000004128: D3B04094 1E5265B4
	v_pk_fma_f32 v[150:151], v[182:183], v[50:51], v[150:151]  // 000000004130: D3B04096 1E5A65B6
	v_pk_fma_f32 v[156:157], v[188:189], v[50:51], v[156:157]  // 000000004138: D3B0409C 1E7265BC
	v_pk_fma_f32 v[158:159], v[190:191], v[50:51], v[158:159]  // 000000004140: D3B0409E 1E7A65BE
	s_waitcnt vmcnt(10)                                        // 000000004148: BF8C0F7A
	v_mov_b32_e32 v28, 0x358637bd                              // 00000000414C: 7E3802FF 358637BD
	v_lshlrev_b32_e32 v50, 16, v224                            // 000000004154: 2465C090
	v_and_b32_e32 v51, 0xffff0000, v224                        // 000000004158: 2667C0FF FFFF0000
	v_max3_f32 v28, |v51|, |v50|, v28                          // 000000004160: D1D3031C 04726533
	v_lshlrev_b32_e32 v50, 16, v225                            // 000000004168: 2465C290
	v_and_b32_e32 v51, 0xffff0000, v225                        // 00000000416C: 2667C2FF FFFF0000
	v_max3_f32 v28, |v51|, |v50|, v28                          // 000000004174: D1D3031C 04726533
	v_lshlrev_b32_e32 v50, 16, v226                            // 00000000417C: 2465C490
	v_and_b32_e32 v51, 0xffff0000, v226                        // 000000004180: 2667C4FF FFFF0000
	v_max3_f32 v28, |v51|, |v50|, v28                          // 000000004188: D1D3031C 04726533
	v_lshlrev_b32_e32 v50, 16, v227                            // 000000004190: 2465C690
	v_and_b32_e32 v51, 0xffff0000, v227                        // 000000004194: 2667C6FF FFFF0000
	v_max3_f32 v28, |v51|, |v50|, v28                          // 00000000419C: D1D3031C 04726533
	v_lshlrev_b32_e32 v50, 16, v228                            // 0000000041A4: 2465C890
	v_and_b32_e32 v51, 0xffff0000, v228                        // 0000000041A8: 2667C8FF FFFF0000
	v_max3_f32 v28, |v51|, |v50|, v28                          // 0000000041B0: D1D3031C 04726533
	v_lshlrev_b32_e32 v50, 16, v229                            // 0000000041B8: 2465CA90
	v_and_b32_e32 v51, 0xffff0000, v229                        // 0000000041BC: 2667CAFF FFFF0000
	v_max3_f32 v28, |v51|, |v50|, v28                          // 0000000041C4: D1D3031C 04726533
	v_lshlrev_b32_e32 v50, 16, v230                            // 0000000041CC: 2465CC90
	v_and_b32_e32 v51, 0xffff0000, v230                        // 0000000041D0: 2667CCFF FFFF0000
	v_max3_f32 v28, |v51|, |v50|, v28                          // 0000000041D8: D1D3031C 04726533
	v_lshlrev_b32_e32 v50, 16, v231                            // 0000000041E0: 2465CE90
	v_and_b32_e32 v51, 0xffff0000, v231                        // 0000000041E4: 2667CEFF FFFF0000
	v_max3_f32 v28, |v51|, |v50|, v28                          // 0000000041EC: D1D3031C 04726533
	s_barrier                                                  // 0000000041F4: BF8A0000
	v_max_f32_dpp v29, v28, v28 quad_perm:[1,2,3,0] row_mask:0xf bank_mask:0xf// 0000000041F8: 163A38FA FF00391C
	s_nop 1                                                    // 000000004200: BF800001
	v_max_f32_dpp v50, v29, v29 quad_perm:[2,3,0,1] row_mask:0xf bank_mask:0xf// 000000004204: 16643AFA FF004E1D
	s_nop 1                                                    // 00000000420C: BF800001
	v_max_f32_dpp v28, v50, v50 row_half_mirror row_mask:0xf bank_mask:0xf// 000000004210: 163864FA FF014132
	s_mov_b32 s60, 0x43e00000                                  // 000000004218: BEBC00FF 43E00000
	s_mov_b32 s61, 0x3b124925                                  // 000000004220: BEBD00FF 3B124925
	s_mov_b32 s62, 0xc3e00000                                  // 000000004228: BEBE00FF C3E00000
	v_rcp_f32_e32 v50, v28                                     // 000000004230: 7E64451C
	v_mul_f32_e32 v32, s61, v28                                // 000000004234: 0A40383D
	v_fma_f32 v51, v32, s62, v28                               // 000000004238: D1CB0033 04707D20
	v_fma_f32 v32, v51, s61, v32                               // 000000004240: D1CB0020 04807B33
	v_mul_f32_e32 v29, s60, v50                                // 000000004248: 0A3A643C
	v_xor_b32_e32 v51, 0x80000000, v28                         // 00000000424C: 2A6638FF 80000000
	v_fma_f32 v51, v51, v29, s60                               // 000000004254: D1CB0033 00F23B33
	v_fma_f32 v28, v51, v50, v29                               // 00000000425C: D1CB001C 04766533
	v_mov_b32_e32 v29, v28                                     // 000000004264: 7E3A031C
	v_lshlrev_b32_e32 v50, 16, v224                            // 000000004268: 2465C090
	v_and_b32_e32 v51, 0xffff0000, v224                        // 00000000426C: 2667C0FF FFFF0000
	v_pk_mul_f32 v[50:51], v[50:51], v[28:29]                  // 000000004274: D3B14032 18023932
	v_cvt_pk_fp8_f32 v224, v50, v51                            // 00000000427C: D2A200E0 00026732
	v_lshlrev_b32_e32 v50, 16, v225                            // 000000004284: 2465C290
	v_and_b32_e32 v51, 0xffff0000, v225                        // 000000004288: 2667C2FF FFFF0000
	v_pk_mul_f32 v[50:51], v[50:51], v[28:29]                  // 000000004290: D3B14032 18023932
	v_cvt_pk_fp8_f32 v224, v50, v51 op_sel:[0,0,1]             // 000000004298: D2A240E0 00026732
	v_lshlrev_b32_e32 v50, 16, v226                            // 0000000042A0: 2465C490
	v_and_b32_e32 v51, 0xffff0000, v226                        // 0000000042A4: 2667C4FF FFFF0000
	v_pk_mul_f32 v[50:51], v[50:51], v[28:29]                  // 0000000042AC: D3B14032 18023932
	v_cvt_pk_fp8_f32 v225, v50, v51                            // 0000000042B4: D2A200E1 00026732
	v_lshlrev_b32_e32 v50, 16, v227                            // 0000000042BC: 2465C690
	v_and_b32_e32 v51, 0xffff0000, v227                        // 0000000042C0: 2667C6FF FFFF0000
	v_pk_mul_f32 v[50:51], v[50:51], v[28:29]                  // 0000000042C8: D3B14032 18023932
	v_cvt_pk_fp8_f32 v225, v50, v51 op_sel:[0,0,1]             // 0000000042D0: D2A240E1 00026732
	v_lshlrev_b32_e32 v50, 16, v228                            // 0000000042D8: 2465C890
	v_and_b32_e32 v51, 0xffff0000, v228                        // 0000000042DC: 2667C8FF FFFF0000
	v_pk_mul_f32 v[50:51], v[50:51], v[28:29]                  // 0000000042E4: D3B14032 18023932
	v_cvt_pk_fp8_f32 v226, v50, v51                            // 0000000042EC: D2A200E2 00026732
	v_lshlrev_b32_e32 v50, 16, v229                            // 0000000042F4: 2465CA90
	v_and_b32_e32 v51, 0xffff0000, v229                        // 0000000042F8: 2667CAFF FFFF0000
	v_pk_mul_f32 v[50:51], v[50:51], v[28:29]                  // 000000004300: D3B14032 18023932
	v_cvt_pk_fp8_f32 v226, v50, v51 op_sel:[0,0,1]             // 000000004308: D2A240E2 00026732
	v_lshlrev_b32_e32 v50, 16, v230                            // 000000004310: 2465CC90
	v_and_b32_e32 v51, 0xffff0000, v230                        // 000000004314: 2667CCFF FFFF0000
	v_pk_mul_f32 v[50:51], v[50:51], v[28:29]                  // 00000000431C: D3B14032 18023932
	v_cvt_pk_fp8_f32 v227, v50, v51                            // 000000004324: D2A200E3 00026732
	v_lshlrev_b32_e32 v50, 16, v231                            // 00000000432C: 2465CE90
	v_and_b32_e32 v51, 0xffff0000, v231                        // 000000004330: 2667CEFF FFFF0000
	v_pk_mul_f32 v[50:51], v[50:51], v[28:29]                  // 000000004338: D3B14032 18023932
	v_cvt_pk_fp8_f32 v227, v50, v51 op_sel:[0,0,1]             // 000000004340: D2A240E3 00026732
	v_lshlrev_b32_e32 v50, 4, v0                               // 000000004348: 24640084
	v_add_u32_e64 v50, v50, s51                                // 00000000434C: D1340032 00006732
	ds_write_b128 v50, v[224:227]                              // 000000004354: D9BE0000 0000E032
	v_add_u32_e32 v50, 0, v33                                  // 00000000435C: 68644280
	s_mov_b64 s[60:61], exec                                   // 000000004360: BEBC017E
	s_mov_b32 s62, 0xf0f0f0f                                   // 000000004364: BEBE00FF 0F0F0F0F
	s_mov_b32 s63, 0xf0f0f0f                                   // 00000000436C: BEBF00FF 0F0F0F0F
	s_mov_b64 exec, s[62:63]                                   // 000000004374: BEFE013E
	ds_write_b32 v50, v32 offset:17920                         // 000000004378: D81A4600 00002032
	s_mov_b64 exec, s[60:61]                                   // 000000004380: BEFE013C
	s_add_u32 s60, 0x100, s80                                  // 000000004384: 803C50FF 00000100
	s_cmp_lt_u32 s60, s81                                      // 00000000438C: BF0A513C
	s_cselect_b32 s4, s4, 0                                    // 000000004390: 85048004
	s_add_u32 s32, s4, s32                                     // 000000004394: 80202004
	s_addc_u32 s33, 0, s33                                     // 000000004398: 82212180
	s_waitcnt vmcnt(16)                                        // 00000000439C: BF8C4F70
	s_barrier                                                  // 0000000043A0: BF8A0000
	v_mfma_f32_16x16x128_f8f6f4 v[160:163], a[64:71], v[192:199], 0// 0000000043A4: D3AD00A0 0A038140
	v_mfma_f32_16x16x128_f8f6f4 v[164:167], a[64:71], v[208:215], 0// 0000000043AC: D3AD00A4 0A03A140
	buffer_load_dword v23, v11, s[32:35], 0 offen              // 0000000043B4: E0501000 8008170B
	buffer_load_dwordx4 a[0:3], v38, s[24:27], 0 offen         // 0000000043BC: E05C1000 80860026
	buffer_load_dwordx4 a[4:7], v38, s[24:27], 0 offen offset:1024// 0000000043C4: E05C1400 80860426
	v_mfma_f32_16x16x128_f8f6f4 v[168:171], a[72:79], v[192:199], 0// 0000000043CC: D3AD00A8 0A038148
	v_mfma_f32_16x16x128_f8f6f4 v[172:175], a[72:79], v[208:215], 0// 0000000043D4: D3AD00AC 0A03A148
	buffer_load_dwordx4 a[8:11], v39, s[24:27], 0 offen        // 0000000043DC: E05C1000 80860827
	buffer_load_dwordx4 a[12:15], v39, s[24:27], 0 offen offset:1024// 0000000043E4: E05C1400 80860C27
	s_waitcnt vmcnt(13)                                        // 0000000043EC: BF8C0F7D
	v_mfma_f32_16x16x128_f8f6f4 v[176:179], a[80:87], v[192:199], 0// 0000000043F0: D3AD00B0 0A038150
	v_mfma_f32_16x16x128_f8f6f4 v[180:183], a[80:87], v[208:215], 0// 0000000043F8: D3AD00B4 0A03A150
	buffer_load_dwordx4 a[16:19], v40, s[24:27], 0 offen       // 000000004400: E05C1000 80861028
	buffer_load_dwordx4 a[20:23], v40, s[24:27], 0 offen offset:1024// 000000004408: E05C1400 80861428
	v_mfma_f32_16x16x128_f8f6f4 v[184:187], a[88:95], v[192:199], 0// 000000004410: D3AD00B8 0A038158
	v_mfma_f32_16x16x128_f8f6f4 v[188:191], a[88:95], v[208:215], 0// 000000004418: D3AD00BC 0A03A158
	buffer_load_dwordx4 a[24:27], v41, s[24:27], 0 offen       // 000000004420: E05C1000 80861829
	buffer_load_dwordx4 a[28:31], v41, s[24:27], 0 offen offset:1024// 000000004428: E05C1400 80861C29
	s_waitcnt vmcnt(17)                                        // 000000004430: BF8C4F71
	v_mov_b32_e32 v28, 0x358637bd                              // 000000004434: 7E3802FF 358637BD
	v_lshlrev_b32_e32 v50, 16, v232                            // 00000000443C: 2465D090
	v_and_b32_e32 v51, 0xffff0000, v232                        // 000000004440: 2667D0FF FFFF0000
	v_max3_f32 v28, |v51|, |v50|, v28                          // 000000004448: D1D3031C 04726533
	v_lshlrev_b32_e32 v50, 16, v233                            // 000000004450: 2465D290
	v_and_b32_e32 v51, 0xffff0000, v233                        // 000000004454: 2667D2FF FFFF0000
	v_max3_f32 v28, |v51|, |v50|, v28                          // 00000000445C: D1D3031C 04726533
	v_lshlrev_b32_e32 v50, 16, v234                            // 000000004464: 2465D490
	v_and_b32_e32 v51, 0xffff0000, v234                        // 000000004468: 2667D4FF FFFF0000
	v_max3_f32 v28, |v51|, |v50|, v28                          // 000000004470: D1D3031C 04726533
	v_lshlrev_b32_e32 v50, 16, v235                            // 000000004478: 2465D690
	v_and_b32_e32 v51, 0xffff0000, v235                        // 00000000447C: 2667D6FF FFFF0000
	v_max3_f32 v28, |v51|, |v50|, v28                          // 000000004484: D1D3031C 04726533
	v_lshlrev_b32_e32 v50, 16, v236                            // 00000000448C: 2465D890
	v_and_b32_e32 v51, 0xffff0000, v236                        // 000000004490: 2667D8FF FFFF0000
	v_max3_f32 v28, |v51|, |v50|, v28                          // 000000004498: D1D3031C 04726533
	v_lshlrev_b32_e32 v50, 16, v237                            // 0000000044A0: 2465DA90
	v_and_b32_e32 v51, 0xffff0000, v237                        // 0000000044A4: 2667DAFF FFFF0000
	v_max3_f32 v28, |v51|, |v50|, v28                          // 0000000044AC: D1D3031C 04726533
	v_lshlrev_b32_e32 v50, 16, v238                            // 0000000044B4: 2465DC90
	v_and_b32_e32 v51, 0xffff0000, v238                        // 0000000044B8: 2667DCFF FFFF0000
	v_max3_f32 v28, |v51|, |v50|, v28                          // 0000000044C0: D1D3031C 04726533
	v_lshlrev_b32_e32 v50, 16, v239                            // 0000000044C8: 2465DE90
	v_and_b32_e32 v51, 0xffff0000, v239                        // 0000000044CC: 2667DEFF FFFF0000
	v_max3_f32 v28, |v51|, |v50|, v28                          // 0000000044D4: D1D3031C 04726533
	s_barrier                                                  // 0000000044DC: BF8A0000
	v_max_f32_dpp v29, v28, v28 quad_perm:[1,2,3,0] row_mask:0xf bank_mask:0xf// 0000000044E0: 163A38FA FF00391C
	s_nop 1                                                    // 0000000044E8: BF800001
	v_max_f32_dpp v50, v29, v29 quad_perm:[2,3,0,1] row_mask:0xf bank_mask:0xf// 0000000044EC: 16643AFA FF004E1D
	s_nop 1                                                    // 0000000044F4: BF800001
	v_max_f32_dpp v28, v50, v50 row_half_mirror row_mask:0xf bank_mask:0xf// 0000000044F8: 163864FA FF014132
	s_mov_b32 s60, 0x43e00000                                  // 000000004500: BEBC00FF 43E00000
	s_mov_b32 s61, 0x3b124925                                  // 000000004508: BEBD00FF 3B124925
	s_mov_b32 s62, 0xc3e00000                                  // 000000004510: BEBE00FF C3E00000
	v_rcp_f32_e32 v50, v28                                     // 000000004518: 7E64451C
	v_mul_f32_e32 v32, s61, v28                                // 00000000451C: 0A40383D
	v_fma_f32 v51, v32, s62, v28                               // 000000004520: D1CB0033 04707D20
	v_fma_f32 v32, v51, s61, v32                               // 000000004528: D1CB0020 04807B33
	v_mul_f32_e32 v29, s60, v50                                // 000000004530: 0A3A643C
	v_xor_b32_e32 v51, 0x80000000, v28                         // 000000004534: 2A6638FF 80000000
	v_fma_f32 v51, v51, v29, s60                               // 00000000453C: D1CB0033 00F23B33
	v_fma_f32 v28, v51, v50, v29                               // 000000004544: D1CB001C 04766533
	v_mov_b32_e32 v29, v28                                     // 00000000454C: 7E3A031C
	v_lshlrev_b32_e32 v50, 16, v232                            // 000000004550: 2465D090
	v_and_b32_e32 v51, 0xffff0000, v232                        // 000000004554: 2667D0FF FFFF0000
	v_pk_mul_f32 v[50:51], v[50:51], v[28:29]                  // 00000000455C: D3B14032 18023932
	v_cvt_pk_fp8_f32 v232, v50, v51                            // 000000004564: D2A200E8 00026732
	v_lshlrev_b32_e32 v50, 16, v233                            // 00000000456C: 2465D290
	v_and_b32_e32 v51, 0xffff0000, v233                        // 000000004570: 2667D2FF FFFF0000
	v_pk_mul_f32 v[50:51], v[50:51], v[28:29]                  // 000000004578: D3B14032 18023932
	v_cvt_pk_fp8_f32 v232, v50, v51 op_sel:[0,0,1]             // 000000004580: D2A240E8 00026732
	v_lshlrev_b32_e32 v50, 16, v234                            // 000000004588: 2465D490
	v_and_b32_e32 v51, 0xffff0000, v234                        // 00000000458C: 2667D4FF FFFF0000
	v_pk_mul_f32 v[50:51], v[50:51], v[28:29]                  // 000000004594: D3B14032 18023932
	v_cvt_pk_fp8_f32 v233, v50, v51                            // 00000000459C: D2A200E9 00026732
	v_lshlrev_b32_e32 v50, 16, v235                            // 0000000045A4: 2465D690
	v_and_b32_e32 v51, 0xffff0000, v235                        // 0000000045A8: 2667D6FF FFFF0000
	v_pk_mul_f32 v[50:51], v[50:51], v[28:29]                  // 0000000045B0: D3B14032 18023932
	v_cvt_pk_fp8_f32 v233, v50, v51 op_sel:[0,0,1]             // 0000000045B8: D2A240E9 00026732
	v_lshlrev_b32_e32 v50, 16, v236                            // 0000000045C0: 2465D890
	v_and_b32_e32 v51, 0xffff0000, v236                        // 0000000045C4: 2667D8FF FFFF0000
	v_pk_mul_f32 v[50:51], v[50:51], v[28:29]                  // 0000000045CC: D3B14032 18023932
	v_cvt_pk_fp8_f32 v234, v50, v51                            // 0000000045D4: D2A200EA 00026732
	v_lshlrev_b32_e32 v50, 16, v237                            // 0000000045DC: 2465DA90
	v_and_b32_e32 v51, 0xffff0000, v237                        // 0000000045E0: 2667DAFF FFFF0000
	v_pk_mul_f32 v[50:51], v[50:51], v[28:29]                  // 0000000045E8: D3B14032 18023932
	v_cvt_pk_fp8_f32 v234, v50, v51 op_sel:[0,0,1]             // 0000000045F0: D2A240EA 00026732
	v_lshlrev_b32_e32 v50, 16, v238                            // 0000000045F8: 2465DC90
	v_and_b32_e32 v51, 0xffff0000, v238                        // 0000000045FC: 2667DCFF FFFF0000
	v_pk_mul_f32 v[50:51], v[50:51], v[28:29]                  // 000000004604: D3B14032 18023932
	v_cvt_pk_fp8_f32 v235, v50, v51                            // 00000000460C: D2A200EB 00026732
	v_lshlrev_b32_e32 v50, 16, v239                            // 000000004614: 2465DE90
	v_and_b32_e32 v51, 0xffff0000, v239                        // 000000004618: 2667DEFF FFFF0000
	v_pk_mul_f32 v[50:51], v[50:51], v[28:29]                  // 000000004620: D3B14032 18023932
	v_cvt_pk_fp8_f32 v235, v50, v51 op_sel:[0,0,1]             // 000000004628: D2A240EB 00026732
	v_lshlrev_b32_e32 v50, 4, v0                               // 000000004630: 24640084
	v_add_u32_e64 v50, v50, s51                                // 000000004634: D1340032 00006732
	ds_write_b128 v50, v[232:235] offset:4224                  // 00000000463C: D9BE1080 0000E832
	v_add_u32_e32 v50, 0x200, v33                              // 000000004644: 686442FF 00000200
	s_mov_b64 s[60:61], exec                                   // 00000000464C: BEBC017E
	s_mov_b32 s62, 0xf0f0f0f                                   // 000000004650: BEBE00FF 0F0F0F0F
	s_mov_b32 s63, 0xf0f0f0f                                   // 000000004658: BEBF00FF 0F0F0F0F
	s_mov_b64 exec, s[62:63]                                   // 000000004660: BEFE013E
	ds_write_b32 v50, v32 offset:17920                         // 000000004664: D81A4600 00002032
	s_mov_b64 exec, s[60:61]                                   // 00000000466C: BEFE013C
	v_mul_f32_dpp v50, v24, v15 row_newbcast:0 row_mask:0xf bank_mask:0xf// 000000004670: 0A641EFA FF015018
	v_mov_b32_e32 v51, v50                                     // 000000004678: 7E660332
	v_pk_fma_f32 v[64:65], v[160:161], v[50:51], v[64:65]      // 00000000467C: D3B04040 1D0265A0
	v_pk_fma_f32 v[66:67], v[162:163], v[50:51], v[66:67]      // 000000004684: D3B04042 1D0A65A2
	v_pk_fma_f32 v[72:73], v[168:169], v[50:51], v[72:73]      // 00000000468C: D3B04048 1D2265A8
	v_pk_fma_f32 v[74:75], v[170:171], v[50:51], v[74:75]      // 000000004694: D3B0404A 1D2A65AA
	v_mul_f32_dpp v50, v24, v15 row_newbcast:1 row_mask:0xf bank_mask:0xf// 00000000469C: 0A641EFA FF015118
	v_mov_b32_e32 v51, v50                                     // 0000000046A4: 7E660332
	v_pk_fma_f32 v[80:81], v[176:177], v[50:51], v[80:81]      // 0000000046A8: D3B04050 1D4265B0
	v_pk_fma_f32 v[82:83], v[178:179], v[50:51], v[82:83]      // 0000000046B0: D3B04052 1D4A65B2
	v_pk_fma_f32 v[88:89], v[184:185], v[50:51], v[88:89]      // 0000000046B8: D3B04058 1D6265B8
	v_pk_fma_f32 v[90:91], v[186:187], v[50:51], v[90:91]      // 0000000046C0: D3B0405A 1D6A65BA
	v_mul_f32_dpp v50, v24, v16 row_newbcast:0 row_mask:0xf bank_mask:0xf// 0000000046C8: 0A6420FA FF015018
	v_mov_b32_e32 v51, v50                                     // 0000000046D0: 7E660332
	v_pk_fma_f32 v[68:69], v[164:165], v[50:51], v[68:69]      // 0000000046D4: D3B04044 1D1265A4
	v_pk_fma_f32 v[70:71], v[166:167], v[50:51], v[70:71]      // 0000000046DC: D3B04046 1D1A65A6
	v_pk_fma_f32 v[76:77], v[172:173], v[50:51], v[76:77]      // 0000000046E4: D3B0404C 1D3265AC
	v_pk_fma_f32 v[78:79], v[174:175], v[50:51], v[78:79]      // 0000000046EC: D3B0404E 1D3A65AE
	v_mul_f32_dpp v50, v24, v16 row_newbcast:1 row_mask:0xf bank_mask:0xf// 0000000046F4: 0A6420FA FF015118
	v_mov_b32_e32 v51, v50                                     // 0000000046FC: 7E660332
	v_pk_fma_f32 v[84:85], v[180:181], v[50:51], v[84:85]      // 000000004700: D3B04054 1D5265B4
	v_pk_fma_f32 v[86:87], v[182:183], v[50:51], v[86:87]      // 000000004708: D3B04056 1D5A65B6
	v_pk_fma_f32 v[92:93], v[188:189], v[50:51], v[92:93]      // 000000004710: D3B0405C 1D7265BC
	v_pk_fma_f32 v[94:95], v[190:191], v[50:51], v[94:95]      // 000000004718: D3B0405E 1D7A65BE
	s_waitcnt vmcnt(13)                                        // 000000004720: BF8C0F7D
	v_mfma_f32_16x16x128_f8f6f4 v[160:163], a[96:103], v[200:207], 0// 000000004724: D3AD00A0 0A039160
	s_waitcnt lgkmcnt(0)                                       // 00000000472C: BF8CC07F
	s_barrier                                                  // 000000004730: BF8A0000
	ds_read_b128 v[224:227], v2 offset:9472                    // 000000004734: D9FE2500 E0000002
	ds_read_b128 v[228:231], v2 offset:9536                    // 00000000473C: D9FE2540 E4000002
	ds_read_b32 v19, v3 offset:17920                           // 000000004744: D86C4600 13000003
	v_mfma_f32_16x16x128_f8f6f4 v[164:167], a[96:103], v[216:223], 0// 00000000474C: D3AD00A4 0A03B160
	buffer_load_dwordx4 a[32:35], v38, s[24:27], 0 offen offset:2048// 000000004754: E05C1800 80862026
	buffer_load_dwordx4 a[36:39], v38, s[24:27], 0 offen offset:3072// 00000000475C: E05C1C00 80862426
	v_mfma_f32_16x16x128_f8f6f4 v[168:171], a[104:111], v[200:207], 0// 000000004764: D3AD00A8 0A039168
	ds_read_b128 v[232:235], v2 offset:13696                   // 00000000476C: D9FE3580 E8000002
	ds_read_b128 v[236:239], v2 offset:13760                   // 000000004774: D9FE35C0 EC000002
	ds_read_b32 v20, v3 offset:18176                           // 00000000477C: D86C4700 14000003
	v_mfma_f32_16x16x128_f8f6f4 v[172:175], a[104:111], v[216:223], 0// 000000004784: D3AD00AC 0A03B168
	buffer_load_dwordx4 a[40:43], v39, s[24:27], 0 offen offset:2048// 00000000478C: E05C1800 80862827
	buffer_load_dwordx4 a[44:47], v39, s[24:27], 0 offen offset:3072// 000000004794: E05C1C00 80862C27
	s_waitcnt vmcnt(13)                                        // 00000000479C: BF8C0F7D
	v_mfma_f32_16x16x128_f8f6f4 v[176:179], a[112:119], v[200:207], 0// 0000000047A0: D3AD00B0 0A039170
	ds_read_b128 v[240:243], v2 offset:9984                    // 0000000047A8: D9FE2700 F0000002
	ds_read_b128 v[244:247], v2 offset:10048                   // 0000000047B0: D9FE2740 F4000002
	ds_read_b32 v21, v3 offset:18432                           // 0000000047B8: D86C4800 15000003
	v_mfma_f32_16x16x128_f8f6f4 v[180:183], a[112:119], v[216:223], 0// 0000000047C0: D3AD00B4 0A03B170
	buffer_load_dwordx4 a[48:51], v40, s[24:27], 0 offen offset:2048// 0000000047C8: E05C1800 80863028
	buffer_load_dwordx4 a[52:55], v40, s[24:27], 0 offen offset:3072// 0000000047D0: E05C1C00 80863428
	v_mfma_f32_16x16x128_f8f6f4 v[184:187], a[120:127], v[200:207], 0// 0000000047D8: D3AD00B8 0A039178
	ds_read_b128 v[248:251], v2 offset:14208                   // 0000000047E0: D9FE3780 F8000002
	ds_read_b128 v[252:255], v2 offset:14272                   // 0000000047E8: D9FE37C0 FC000002
	ds_read_b32 v22, v3 offset:18688                           // 0000000047F0: D86C4900 16000003
	v_mfma_f32_16x16x128_f8f6f4 v[188:191], a[120:127], v[216:223], 0// 0000000047F8: D3AD00BC 0A03B178
	buffer_load_dwordx4 a[56:59], v41, s[24:27], 0 offen offset:2048// 000000004800: E05C1800 80863829
	buffer_load_dwordx4 a[60:63], v41, s[24:27], 0 offen offset:3072// 000000004808: E05C1C00 80863C29
	v_mul_f32_dpp v50, v24, v17 row_newbcast:2 row_mask:0xf bank_mask:0xf// 000000004810: 0A6422FA FF015218
	v_mov_b32_e32 v51, v50                                     // 000000004818: 7E660332
	v_pk_fma_f32 v[64:65], v[160:161], v[50:51], v[64:65]      // 00000000481C: D3B04040 1D0265A0
	v_pk_fma_f32 v[66:67], v[162:163], v[50:51], v[66:67]      // 000000004824: D3B04042 1D0A65A2
	v_pk_fma_f32 v[72:73], v[168:169], v[50:51], v[72:73]      // 00000000482C: D3B04048 1D2265A8
	v_pk_fma_f32 v[74:75], v[170:171], v[50:51], v[74:75]      // 000000004834: D3B0404A 1D2A65AA
	v_mul_f32_dpp v50, v24, v17 row_newbcast:3 row_mask:0xf bank_mask:0xf// 00000000483C: 0A6422FA FF015318
	v_mov_b32_e32 v51, v50                                     // 000000004844: 7E660332
	v_pk_fma_f32 v[80:81], v[176:177], v[50:51], v[80:81]      // 000000004848: D3B04050 1D4265B0
	v_pk_fma_f32 v[82:83], v[178:179], v[50:51], v[82:83]      // 000000004850: D3B04052 1D4A65B2
	v_pk_fma_f32 v[88:89], v[184:185], v[50:51], v[88:89]      // 000000004858: D3B04058 1D6265B8
	v_pk_fma_f32 v[90:91], v[186:187], v[50:51], v[90:91]      // 000000004860: D3B0405A 1D6A65BA
	v_mul_f32_dpp v50, v24, v18 row_newbcast:2 row_mask:0xf bank_mask:0xf// 000000004868: 0A6424FA FF015218
	v_mov_b32_e32 v51, v50                                     // 000000004870: 7E660332
	v_pk_fma_f32 v[68:69], v[164:165], v[50:51], v[68:69]      // 000000004874: D3B04044 1D1265A4
	v_pk_fma_f32 v[70:71], v[166:167], v[50:51], v[70:71]      // 00000000487C: D3B04046 1D1A65A6
	v_pk_fma_f32 v[76:77], v[172:173], v[50:51], v[76:77]      // 000000004884: D3B0404C 1D3265AC
	v_pk_fma_f32 v[78:79], v[174:175], v[50:51], v[78:79]      // 00000000488C: D3B0404E 1D3A65AE
	v_mul_f32_dpp v50, v24, v18 row_newbcast:3 row_mask:0xf bank_mask:0xf// 000000004894: 0A6424FA FF015318
	v_mov_b32_e32 v51, v50                                     // 00000000489C: 7E660332
	v_pk_fma_f32 v[84:85], v[180:181], v[50:51], v[84:85]      // 0000000048A0: D3B04054 1D5265B4
	v_pk_fma_f32 v[86:87], v[182:183], v[50:51], v[86:87]      // 0000000048A8: D3B04056 1D5A65B6
	v_pk_fma_f32 v[92:93], v[188:189], v[50:51], v[92:93]      // 0000000048B0: D3B0405C 1D7265BC
	v_pk_fma_f32 v[94:95], v[190:191], v[50:51], v[94:95]      // 0000000048B8: D3B0405E 1D7A65BE
	s_add_u32 s60, 0x200, s80                                  // 0000000048C0: 803C50FF 00000200
	s_cmp_lt_u32 s60, s81                                      // 0000000048C8: BF0A513C
	s_cselect_b32 s57, s57, 0                                  // 0000000048CC: 85398039
	s_add_u32 s60, 0x200, s80                                  // 0000000048D0: 803C50FF 00000200
	s_cmp_lt_u32 s60, s81                                      // 0000000048D8: BF0A513C
	s_cselect_b32 s58, s58, 0                                  // 0000000048DC: 853A803A
	s_add_u32 s20, s57, s20                                    // 0000000048E0: 80141439
	s_addc_u32 s21, 0, s21                                     // 0000000048E4: 82151580
	s_add_u32 s24, s58, s24                                    // 0000000048E8: 8018183A
	s_addc_u32 s25, 0, s25                                     // 0000000048EC: 82191980
	s_add_u32 s92, s90, s92                                    // 0000000048F0: 805C5C5A
	s_addc_u32 s93, 0, s93                                     // 0000000048F4: 825D5D80
	s_addk_i32 s80, 0x100                                      // 0000000048F8: B7500100
	s_cmp_lt_i32 s80, s81                                      // 0000000048FC: BF045150
	s_cbranch_scc0 label_0958                                  // 000000004900: BF840297
	s_waitcnt vmcnt(12) lgkmcnt(0)                             // 000000004904: BF8C007C
	s_barrier                                                  // 000000004908: BF8A0000
	v_mfma_f32_16x16x128_f8f6f4 v[160:163], a[0:7], v[224:231], 0// 00000000490C: D3AD00A0 0A03C100
	v_mfma_f32_16x16x128_f8f6f4 v[164:167], a[0:7], v[240:247], 0// 000000004914: D3AD00A4 0A03E100
	buffer_load_dword v24, v13, s[32:35], 0 offen              // 00000000491C: E0501000 8008180D
	buffer_load_dwordx4 a[64:67], v38, s[92:95], 0 offen       // 000000004924: E05C1000 80974026
	buffer_load_dwordx4 a[68:71], v38, s[92:95], 0 offen offset:1024// 00000000492C: E05C1400 80974426
	v_mfma_f32_16x16x128_f8f6f4 v[168:171], a[8:15], v[224:231], 0// 000000004934: D3AD00A8 0A03C108
	v_mfma_f32_16x16x128_f8f6f4 v[172:175], a[8:15], v[240:247], 0// 00000000493C: D3AD00AC 0A03E108
	buffer_load_dwordx4 a[72:75], v39, s[92:95], 0 offen       // 000000004944: E05C1000 80974827
	buffer_load_dwordx4 a[76:79], v39, s[92:95], 0 offen offset:1024// 00000000494C: E05C1400 80974C27
	buffer_load_dwordx4 v[192:195], v36, s[20:23], 0 offen     // 000000004954: E05C1000 8005C024
	buffer_load_dwordx4 v[196:199], v36, s[20:23], 0 offen offset:16// 00000000495C: E05C1010 8005C424
	buffer_load_dwordx4 v[200:203], v37, s[20:23], 0 offen     // 000000004964: E05C1000 8005C825
	buffer_load_dwordx4 v[204:207], v37, s[20:23], 0 offen offset:16// 00000000496C: E05C1010 8005CC25
	s_waitcnt vmcnt(17)                                        // 000000004974: BF8C4F71
	v_mfma_f32_16x16x128_f8f6f4 v[176:179], a[16:23], v[224:231], 0// 000000004978: D3AD00B0 0A03C110
	v_mfma_f32_16x16x128_f8f6f4 v[180:183], a[16:23], v[240:247], 0// 000000004980: D3AD00B4 0A03E110
	buffer_load_dwordx4 a[80:83], v40, s[92:95], 0 offen       // 000000004988: E05C1000 80975028
	buffer_load_dwordx4 a[84:87], v40, s[92:95], 0 offen offset:1024// 000000004990: E05C1400 80975428
	v_mfma_f32_16x16x128_f8f6f4 v[184:187], a[24:31], v[224:231], 0// 000000004998: D3AD00B8 0A03C118
	v_mfma_f32_16x16x128_f8f6f4 v[188:191], a[24:31], v[240:247], 0// 0000000049A0: D3AD00BC 0A03E118
	buffer_load_dwordx4 a[88:91], v41, s[92:95], 0 offen       // 0000000049A8: E05C1000 80975829
	buffer_load_dwordx4 a[92:95], v41, s[92:95], 0 offen offset:1024// 0000000049B0: E05C1400 80975C29
	v_mul_f32_dpp v50, v23, v19 row_newbcast:0 row_mask:0xf bank_mask:0xf// 0000000049B8: 0A6426FA FF015017
	v_mov_b32_e32 v51, v50                                     // 0000000049C0: 7E660332
	v_pk_fma_f32 v[128:129], v[160:161], v[50:51], v[128:129]  // 0000000049C4: D3B04080 1E0265A0
	v_pk_fma_f32 v[130:131], v[162:163], v[50:51], v[130:131]  // 0000000049CC: D3B04082 1E0A65A2
	v_pk_fma_f32 v[136:137], v[168:169], v[50:51], v[136:137]  // 0000000049D4: D3B04088 1E2265A8
	v_pk_fma_f32 v[138:139], v[170:171], v[50:51], v[138:139]  // 0000000049DC: D3B0408A 1E2A65AA
	v_mul_f32_dpp v50, v23, v19 row_newbcast:1 row_mask:0xf bank_mask:0xf// 0000000049E4: 0A6426FA FF015117
	v_mov_b32_e32 v51, v50                                     // 0000000049EC: 7E660332
	v_pk_fma_f32 v[144:145], v[176:177], v[50:51], v[144:145]  // 0000000049F0: D3B04090 1E4265B0
	v_pk_fma_f32 v[146:147], v[178:179], v[50:51], v[146:147]  // 0000000049F8: D3B04092 1E4A65B2
	v_pk_fma_f32 v[152:153], v[184:185], v[50:51], v[152:153]  // 000000004A00: D3B04098 1E6265B8
	v_pk_fma_f32 v[154:155], v[186:187], v[50:51], v[154:155]  // 000000004A08: D3B0409A 1E6A65BA
	v_mul_f32_dpp v50, v23, v20 row_newbcast:0 row_mask:0xf bank_mask:0xf// 000000004A10: 0A6428FA FF015017
	v_mov_b32_e32 v51, v50                                     // 000000004A18: 7E660332
	v_pk_fma_f32 v[132:133], v[164:165], v[50:51], v[132:133]  // 000000004A1C: D3B04084 1E1265A4
	v_pk_fma_f32 v[134:135], v[166:167], v[50:51], v[134:135]  // 000000004A24: D3B04086 1E1A65A6
	v_pk_fma_f32 v[140:141], v[172:173], v[50:51], v[140:141]  // 000000004A2C: D3B0408C 1E3265AC
	v_pk_fma_f32 v[142:143], v[174:175], v[50:51], v[142:143]  // 000000004A34: D3B0408E 1E3A65AE
	v_mul_f32_dpp v50, v23, v20 row_newbcast:1 row_mask:0xf bank_mask:0xf// 000000004A3C: 0A6428FA FF015117
	v_mov_b32_e32 v51, v50                                     // 000000004A44: 7E660332
	v_pk_fma_f32 v[148:149], v[180:181], v[50:51], v[148:149]  // 000000004A48: D3B04094 1E5265B4
	v_pk_fma_f32 v[150:151], v[182:183], v[50:51], v[150:151]  // 000000004A50: D3B04096 1E5A65B6
	v_pk_fma_f32 v[156:157], v[188:189], v[50:51], v[156:157]  // 000000004A58: D3B0409C 1E7265BC
	v_pk_fma_f32 v[158:159], v[190:191], v[50:51], v[158:159]  // 000000004A60: D3B0409E 1E7A65BE
	s_waitcnt vmcnt(17)                                        // 000000004A68: BF8C4F71
	v_mfma_f32_16x16x128_f8f6f4 v[160:163], a[32:39], v[232:239], 0// 000000004A6C: D3AD00A0 0A03D120
	v_mfma_f32_16x16x128_f8f6f4 v[164:167], a[32:39], v[248:255], 0// 000000004A74: D3AD00A4 0A03F120
	buffer_load_dwordx4 a[96:99], v38, s[92:95], 0 offen offset:2048// 000000004A7C: E05C1800 80976026
	buffer_load_dwordx4 a[100:103], v38, s[92:95], 0 offen offset:3072// 000000004A84: E05C1C00 80976426
	v_mfma_f32_16x16x128_f8f6f4 v[168:171], a[40:47], v[232:239], 0// 000000004A8C: D3AD00A8 0A03D128
	v_mfma_f32_16x16x128_f8f6f4 v[172:175], a[40:47], v[248:255], 0// 000000004A94: D3AD00AC 0A03F128
	buffer_load_dwordx4 a[104:107], v39, s[92:95], 0 offen offset:2048// 000000004A9C: E05C1800 80976827
	buffer_load_dwordx4 a[108:111], v39, s[92:95], 0 offen offset:3072// 000000004AA4: E05C1C00 80976C27
	s_waitcnt vmcnt(17)                                        // 000000004AAC: BF8C4F71
	v_mfma_f32_16x16x128_f8f6f4 v[176:179], a[48:55], v[232:239], 0// 000000004AB0: D3AD00B0 0A03D130
	v_mfma_f32_16x16x128_f8f6f4 v[180:183], a[48:55], v[248:255], 0// 000000004AB8: D3AD00B4 0A03F130
	buffer_load_dwordx4 a[112:115], v40, s[92:95], 0 offen offset:2048// 000000004AC0: E05C1800 80977028
	buffer_load_dwordx4 a[116:119], v40, s[92:95], 0 offen offset:3072// 000000004AC8: E05C1C00 80977428
	v_mfma_f32_16x16x128_f8f6f4 v[184:187], a[56:63], v[232:239], 0// 000000004AD0: D3AD00B8 0A03D138
	v_mfma_f32_16x16x128_f8f6f4 v[188:191], a[56:63], v[248:255], 0// 000000004AD8: D3AD00BC 0A03F138
	buffer_load_dwordx4 a[120:123], v41, s[92:95], 0 offen offset:2048// 000000004AE0: E05C1800 80977829
	buffer_load_dwordx4 a[124:127], v41, s[92:95], 0 offen offset:3072// 000000004AE8: E05C1C00 80977C29
	v_mul_f32_dpp v50, v23, v21 row_newbcast:2 row_mask:0xf bank_mask:0xf// 000000004AF0: 0A642AFA FF015217
	v_mov_b32_e32 v51, v50                                     // 000000004AF8: 7E660332
	v_pk_fma_f32 v[128:129], v[160:161], v[50:51], v[128:129]  // 000000004AFC: D3B04080 1E0265A0
	v_pk_fma_f32 v[130:131], v[162:163], v[50:51], v[130:131]  // 000000004B04: D3B04082 1E0A65A2
	v_pk_fma_f32 v[136:137], v[168:169], v[50:51], v[136:137]  // 000000004B0C: D3B04088 1E2265A8
	v_pk_fma_f32 v[138:139], v[170:171], v[50:51], v[138:139]  // 000000004B14: D3B0408A 1E2A65AA
	v_mul_f32_dpp v50, v23, v21 row_newbcast:3 row_mask:0xf bank_mask:0xf// 000000004B1C: 0A642AFA FF015317
	v_mov_b32_e32 v51, v50                                     // 000000004B24: 7E660332
	v_pk_fma_f32 v[144:145], v[176:177], v[50:51], v[144:145]  // 000000004B28: D3B04090 1E4265B0
	v_pk_fma_f32 v[146:147], v[178:179], v[50:51], v[146:147]  // 000000004B30: D3B04092 1E4A65B2
	v_pk_fma_f32 v[152:153], v[184:185], v[50:51], v[152:153]  // 000000004B38: D3B04098 1E6265B8
	v_pk_fma_f32 v[154:155], v[186:187], v[50:51], v[154:155]  // 000000004B40: D3B0409A 1E6A65BA
	v_mul_f32_dpp v50, v23, v22 row_newbcast:2 row_mask:0xf bank_mask:0xf// 000000004B48: 0A642CFA FF015217
	v_mov_b32_e32 v51, v50                                     // 000000004B50: 7E660332
	v_pk_fma_f32 v[132:133], v[164:165], v[50:51], v[132:133]  // 000000004B54: D3B04084 1E1265A4
	v_pk_fma_f32 v[134:135], v[166:167], v[50:51], v[134:135]  // 000000004B5C: D3B04086 1E1A65A6
	v_pk_fma_f32 v[140:141], v[172:173], v[50:51], v[140:141]  // 000000004B64: D3B0408C 1E3265AC
	v_pk_fma_f32 v[142:143], v[174:175], v[50:51], v[142:143]  // 000000004B6C: D3B0408E 1E3A65AE
	v_mul_f32_dpp v50, v23, v22 row_newbcast:3 row_mask:0xf bank_mask:0xf// 000000004B74: 0A642CFA FF015317
	v_mov_b32_e32 v51, v50                                     // 000000004B7C: 7E660332
	v_pk_fma_f32 v[148:149], v[180:181], v[50:51], v[148:149]  // 000000004B80: D3B04094 1E5265B4
	v_pk_fma_f32 v[150:151], v[182:183], v[50:51], v[150:151]  // 000000004B88: D3B04096 1E5A65B6
	v_pk_fma_f32 v[156:157], v[188:189], v[50:51], v[156:157]  // 000000004B90: D3B0409C 1E7265BC
	v_pk_fma_f32 v[158:159], v[190:191], v[50:51], v[158:159]  // 000000004B98: D3B0409E 1E7A65BE
	s_waitcnt vmcnt(10)                                        // 000000004BA0: BF8C0F7A
	v_mov_b32_e32 v28, 0x358637bd                              // 000000004BA4: 7E3802FF 358637BD
	v_lshlrev_b32_e32 v50, 16, v192                            // 000000004BAC: 24658090
	v_and_b32_e32 v51, 0xffff0000, v192                        // 000000004BB0: 266780FF FFFF0000
	v_max3_f32 v28, |v51|, |v50|, v28                          // 000000004BB8: D1D3031C 04726533
	v_lshlrev_b32_e32 v50, 16, v193                            // 000000004BC0: 24658290
	v_and_b32_e32 v51, 0xffff0000, v193                        // 000000004BC4: 266782FF FFFF0000
	v_max3_f32 v28, |v51|, |v50|, v28                          // 000000004BCC: D1D3031C 04726533
	v_lshlrev_b32_e32 v50, 16, v194                            // 000000004BD4: 24658490
	v_and_b32_e32 v51, 0xffff0000, v194                        // 000000004BD8: 266784FF FFFF0000
	v_max3_f32 v28, |v51|, |v50|, v28                          // 000000004BE0: D1D3031C 04726533
	v_lshlrev_b32_e32 v50, 16, v195                            // 000000004BE8: 24658690
	v_and_b32_e32 v51, 0xffff0000, v195                        // 000000004BEC: 266786FF FFFF0000
	v_max3_f32 v28, |v51|, |v50|, v28                          // 000000004BF4: D1D3031C 04726533
	v_lshlrev_b32_e32 v50, 16, v196                            // 000000004BFC: 24658890
	v_and_b32_e32 v51, 0xffff0000, v196                        // 000000004C00: 266788FF FFFF0000
	v_max3_f32 v28, |v51|, |v50|, v28                          // 000000004C08: D1D3031C 04726533
	v_lshlrev_b32_e32 v50, 16, v197                            // 000000004C10: 24658A90
	v_and_b32_e32 v51, 0xffff0000, v197                        // 000000004C14: 26678AFF FFFF0000
	v_max3_f32 v28, |v51|, |v50|, v28                          // 000000004C1C: D1D3031C 04726533
	v_lshlrev_b32_e32 v50, 16, v198                            // 000000004C24: 24658C90
	v_and_b32_e32 v51, 0xffff0000, v198                        // 000000004C28: 26678CFF FFFF0000
	v_max3_f32 v28, |v51|, |v50|, v28                          // 000000004C30: D1D3031C 04726533
	v_lshlrev_b32_e32 v50, 16, v199                            // 000000004C38: 24658E90
	v_and_b32_e32 v51, 0xffff0000, v199                        // 000000004C3C: 26678EFF FFFF0000
	v_max3_f32 v28, |v51|, |v50|, v28                          // 000000004C44: D1D3031C 04726533
	s_barrier                                                  // 000000004C4C: BF8A0000
	v_max_f32_dpp v29, v28, v28 quad_perm:[1,2,3,0] row_mask:0xf bank_mask:0xf// 000000004C50: 163A38FA FF00391C
	s_nop 1                                                    // 000000004C58: BF800001
	v_max_f32_dpp v50, v29, v29 quad_perm:[2,3,0,1] row_mask:0xf bank_mask:0xf// 000000004C5C: 16643AFA FF004E1D
	s_nop 1                                                    // 000000004C64: BF800001
	v_max_f32_dpp v28, v50, v50 row_half_mirror row_mask:0xf bank_mask:0xf// 000000004C68: 163864FA FF014132
	s_mov_b32 s60, 0x43e00000                                  // 000000004C70: BEBC00FF 43E00000
	s_mov_b32 s61, 0x3b124925                                  // 000000004C78: BEBD00FF 3B124925
	s_mov_b32 s62, 0xc3e00000                                  // 000000004C80: BEBE00FF C3E00000
	v_rcp_f32_e32 v50, v28                                     // 000000004C88: 7E64451C
	v_mul_f32_e32 v32, s61, v28                                // 000000004C8C: 0A40383D
	v_fma_f32 v51, v32, s62, v28                               // 000000004C90: D1CB0033 04707D20
	v_fma_f32 v32, v51, s61, v32                               // 000000004C98: D1CB0020 04807B33
	v_mul_f32_e32 v29, s60, v50                                // 000000004CA0: 0A3A643C
	v_xor_b32_e32 v51, 0x80000000, v28                         // 000000004CA4: 2A6638FF 80000000
	v_fma_f32 v51, v51, v29, s60                               // 000000004CAC: D1CB0033 00F23B33
	v_fma_f32 v28, v51, v50, v29                               // 000000004CB4: D1CB001C 04766533
	v_mov_b32_e32 v29, v28                                     // 000000004CBC: 7E3A031C
	v_lshlrev_b32_e32 v50, 16, v192                            // 000000004CC0: 24658090
	v_and_b32_e32 v51, 0xffff0000, v192                        // 000000004CC4: 266780FF FFFF0000
	v_pk_mul_f32 v[50:51], v[50:51], v[28:29]                  // 000000004CCC: D3B14032 18023932
	v_cvt_pk_fp8_f32 v192, v50, v51                            // 000000004CD4: D2A200C0 00026732
	v_lshlrev_b32_e32 v50, 16, v193                            // 000000004CDC: 24658290
	v_and_b32_e32 v51, 0xffff0000, v193                        // 000000004CE0: 266782FF FFFF0000
	v_pk_mul_f32 v[50:51], v[50:51], v[28:29]                  // 000000004CE8: D3B14032 18023932
	v_cvt_pk_fp8_f32 v192, v50, v51 op_sel:[0,0,1]             // 000000004CF0: D2A240C0 00026732
	v_lshlrev_b32_e32 v50, 16, v194                            // 000000004CF8: 24658490
	v_and_b32_e32 v51, 0xffff0000, v194                        // 000000004CFC: 266784FF FFFF0000
	v_pk_mul_f32 v[50:51], v[50:51], v[28:29]                  // 000000004D04: D3B14032 18023932
	v_cvt_pk_fp8_f32 v193, v50, v51                            // 000000004D0C: D2A200C1 00026732
	v_lshlrev_b32_e32 v50, 16, v195                            // 000000004D14: 24658690
	v_and_b32_e32 v51, 0xffff0000, v195                        // 000000004D18: 266786FF FFFF0000
	v_pk_mul_f32 v[50:51], v[50:51], v[28:29]                  // 000000004D20: D3B14032 18023932
	v_cvt_pk_fp8_f32 v193, v50, v51 op_sel:[0,0,1]             // 000000004D28: D2A240C1 00026732
	v_lshlrev_b32_e32 v50, 16, v196                            // 000000004D30: 24658890
	v_and_b32_e32 v51, 0xffff0000, v196                        // 000000004D34: 266788FF FFFF0000
	v_pk_mul_f32 v[50:51], v[50:51], v[28:29]                  // 000000004D3C: D3B14032 18023932
	v_cvt_pk_fp8_f32 v194, v50, v51                            // 000000004D44: D2A200C2 00026732
	v_lshlrev_b32_e32 v50, 16, v197                            // 000000004D4C: 24658A90
	v_and_b32_e32 v51, 0xffff0000, v197                        // 000000004D50: 26678AFF FFFF0000
	v_pk_mul_f32 v[50:51], v[50:51], v[28:29]                  // 000000004D58: D3B14032 18023932
	v_cvt_pk_fp8_f32 v194, v50, v51 op_sel:[0,0,1]             // 000000004D60: D2A240C2 00026732
	v_lshlrev_b32_e32 v50, 16, v198                            // 000000004D68: 24658C90
	v_and_b32_e32 v51, 0xffff0000, v198                        // 000000004D6C: 26678CFF FFFF0000
	v_pk_mul_f32 v[50:51], v[50:51], v[28:29]                  // 000000004D74: D3B14032 18023932
	v_cvt_pk_fp8_f32 v195, v50, v51                            // 000000004D7C: D2A200C3 00026732
	v_lshlrev_b32_e32 v50, 16, v199                            // 000000004D84: 24658E90
	v_and_b32_e32 v51, 0xffff0000, v199                        // 000000004D88: 26678EFF FFFF0000
	v_pk_mul_f32 v[50:51], v[50:51], v[28:29]                  // 000000004D90: D3B14032 18023932
	v_cvt_pk_fp8_f32 v195, v50, v51 op_sel:[0,0,1]             // 000000004D98: D2A240C3 00026732
	v_lshlrev_b32_e32 v50, 4, v0                               // 000000004DA0: 24640084
	v_add_u32_e64 v50, v50, s50                                // 000000004DA4: D1340032 00006532
	ds_write_b128 v50, v[192:195]                              // 000000004DAC: D9BE0000 0000C032
	v_add_u32_e32 v50, 0, v33                                  // 000000004DB4: 68644280
	s_mov_b64 s[60:61], exec                                   // 000000004DB8: BEBC017E
	s_mov_b32 s62, 0xf0f0f0f                                   // 000000004DBC: BEBE00FF 0F0F0F0F
	s_mov_b32 s63, 0xf0f0f0f                                   // 000000004DC4: BEBF00FF 0F0F0F0F
	s_mov_b64 exec, s[62:63]                                   // 000000004DCC: BEFE013E
	ds_write_b32 v50, v32 offset:8448                          // 000000004DD0: D81A2100 00002032
	s_mov_b64 exec, s[60:61]                                   // 000000004DD8: BEFE013C
	s_add_u32 s60, 0x100, s80                                  // 000000004DDC: 803C50FF 00000100
	s_cmp_lt_u32 s60, s81                                      // 000000004DE4: BF0A513C
	s_cselect_b32 s4, s4, 0                                    // 000000004DE8: 85048004
	s_add_u32 s32, s4, s32                                     // 000000004DEC: 80202004
	s_addc_u32 s33, 0, s33                                     // 000000004DF0: 82212180
	s_waitcnt vmcnt(16)                                        // 000000004DF4: BF8C4F70
	s_barrier                                                  // 000000004DF8: BF8A0000
	v_mfma_f32_16x16x128_f8f6f4 v[160:163], a[64:71], v[224:231], 0// 000000004DFC: D3AD00A0 0A03C140
	v_mfma_f32_16x16x128_f8f6f4 v[164:167], a[64:71], v[240:247], 0// 000000004E04: D3AD00A4 0A03E140
	buffer_load_dword v23, v11, s[32:35], 0 offen              // 000000004E0C: E0501000 8008170B
	buffer_load_dwordx4 a[0:3], v38, s[24:27], 0 offen         // 000000004E14: E05C1000 80860026
	buffer_load_dwordx4 a[4:7], v38, s[24:27], 0 offen offset:1024// 000000004E1C: E05C1400 80860426
	v_mfma_f32_16x16x128_f8f6f4 v[168:171], a[72:79], v[224:231], 0// 000000004E24: D3AD00A8 0A03C148
	v_mfma_f32_16x16x128_f8f6f4 v[172:175], a[72:79], v[240:247], 0// 000000004E2C: D3AD00AC 0A03E148
	buffer_load_dwordx4 a[8:11], v39, s[24:27], 0 offen        // 000000004E34: E05C1000 80860827
	buffer_load_dwordx4 a[12:15], v39, s[24:27], 0 offen offset:1024// 000000004E3C: E05C1400 80860C27
	s_waitcnt vmcnt(13)                                        // 000000004E44: BF8C0F7D
	v_mfma_f32_16x16x128_f8f6f4 v[176:179], a[80:87], v[224:231], 0// 000000004E48: D3AD00B0 0A03C150
	v_mfma_f32_16x16x128_f8f6f4 v[180:183], a[80:87], v[240:247], 0// 000000004E50: D3AD00B4 0A03E150
	buffer_load_dwordx4 a[16:19], v40, s[24:27], 0 offen       // 000000004E58: E05C1000 80861028
	buffer_load_dwordx4 a[20:23], v40, s[24:27], 0 offen offset:1024// 000000004E60: E05C1400 80861428
	v_mfma_f32_16x16x128_f8f6f4 v[184:187], a[88:95], v[224:231], 0// 000000004E68: D3AD00B8 0A03C158
	v_mfma_f32_16x16x128_f8f6f4 v[188:191], a[88:95], v[240:247], 0// 000000004E70: D3AD00BC 0A03E158
	buffer_load_dwordx4 a[24:27], v41, s[24:27], 0 offen       // 000000004E78: E05C1000 80861829
	buffer_load_dwordx4 a[28:31], v41, s[24:27], 0 offen offset:1024// 000000004E80: E05C1400 80861C29
	s_waitcnt vmcnt(17)                                        // 000000004E88: BF8C4F71
	v_mov_b32_e32 v28, 0x358637bd                              // 000000004E8C: 7E3802FF 358637BD
	v_lshlrev_b32_e32 v50, 16, v200                            // 000000004E94: 24659090
	v_and_b32_e32 v51, 0xffff0000, v200                        // 000000004E98: 266790FF FFFF0000
	v_max3_f32 v28, |v51|, |v50|, v28                          // 000000004EA0: D1D3031C 04726533
	v_lshlrev_b32_e32 v50, 16, v201                            // 000000004EA8: 24659290
	v_and_b32_e32 v51, 0xffff0000, v201                        // 000000004EAC: 266792FF FFFF0000
	v_max3_f32 v28, |v51|, |v50|, v28                          // 000000004EB4: D1D3031C 04726533
	v_lshlrev_b32_e32 v50, 16, v202                            // 000000004EBC: 24659490
	v_and_b32_e32 v51, 0xffff0000, v202                        // 000000004EC0: 266794FF FFFF0000
	v_max3_f32 v28, |v51|, |v50|, v28                          // 000000004EC8: D1D3031C 04726533
	v_lshlrev_b32_e32 v50, 16, v203                            // 000000004ED0: 24659690
	v_and_b32_e32 v51, 0xffff0000, v203                        // 000000004ED4: 266796FF FFFF0000
	v_max3_f32 v28, |v51|, |v50|, v28                          // 000000004EDC: D1D3031C 04726533
	v_lshlrev_b32_e32 v50, 16, v204                            // 000000004EE4: 24659890
	v_and_b32_e32 v51, 0xffff0000, v204                        // 000000004EE8: 266798FF FFFF0000
	v_max3_f32 v28, |v51|, |v50|, v28                          // 000000004EF0: D1D3031C 04726533
	v_lshlrev_b32_e32 v50, 16, v205                            // 000000004EF8: 24659A90
	v_and_b32_e32 v51, 0xffff0000, v205                        // 000000004EFC: 26679AFF FFFF0000
	v_max3_f32 v28, |v51|, |v50|, v28                          // 000000004F04: D1D3031C 04726533
	v_lshlrev_b32_e32 v50, 16, v206                            // 000000004F0C: 24659C90
	v_and_b32_e32 v51, 0xffff0000, v206                        // 000000004F10: 26679CFF FFFF0000
	v_max3_f32 v28, |v51|, |v50|, v28                          // 000000004F18: D1D3031C 04726533
	v_lshlrev_b32_e32 v50, 16, v207                            // 000000004F20: 24659E90
	v_and_b32_e32 v51, 0xffff0000, v207                        // 000000004F24: 26679EFF FFFF0000
	v_max3_f32 v28, |v51|, |v50|, v28                          // 000000004F2C: D1D3031C 04726533
	s_barrier                                                  // 000000004F34: BF8A0000
	v_max_f32_dpp v29, v28, v28 quad_perm:[1,2,3,0] row_mask:0xf bank_mask:0xf// 000000004F38: 163A38FA FF00391C
	s_nop 1                                                    // 000000004F40: BF800001
	v_max_f32_dpp v50, v29, v29 quad_perm:[2,3,0,1] row_mask:0xf bank_mask:0xf// 000000004F44: 16643AFA FF004E1D
	s_nop 1                                                    // 000000004F4C: BF800001
	v_max_f32_dpp v28, v50, v50 row_half_mirror row_mask:0xf bank_mask:0xf// 000000004F50: 163864FA FF014132
	s_mov_b32 s60, 0x43e00000                                  // 000000004F58: BEBC00FF 43E00000
	s_mov_b32 s61, 0x3b124925                                  // 000000004F60: BEBD00FF 3B124925
	s_mov_b32 s62, 0xc3e00000                                  // 000000004F68: BEBE00FF C3E00000
	v_rcp_f32_e32 v50, v28                                     // 000000004F70: 7E64451C
	v_mul_f32_e32 v32, s61, v28                                // 000000004F74: 0A40383D
	v_fma_f32 v51, v32, s62, v28                               // 000000004F78: D1CB0033 04707D20
	v_fma_f32 v32, v51, s61, v32                               // 000000004F80: D1CB0020 04807B33
	v_mul_f32_e32 v29, s60, v50                                // 000000004F88: 0A3A643C
	v_xor_b32_e32 v51, 0x80000000, v28                         // 000000004F8C: 2A6638FF 80000000
	v_fma_f32 v51, v51, v29, s60                               // 000000004F94: D1CB0033 00F23B33
	v_fma_f32 v28, v51, v50, v29                               // 000000004F9C: D1CB001C 04766533
	v_mov_b32_e32 v29, v28                                     // 000000004FA4: 7E3A031C
	v_lshlrev_b32_e32 v50, 16, v200                            // 000000004FA8: 24659090
	v_and_b32_e32 v51, 0xffff0000, v200                        // 000000004FAC: 266790FF FFFF0000
	v_pk_mul_f32 v[50:51], v[50:51], v[28:29]                  // 000000004FB4: D3B14032 18023932
	v_cvt_pk_fp8_f32 v200, v50, v51                            // 000000004FBC: D2A200C8 00026732
	v_lshlrev_b32_e32 v50, 16, v201                            // 000000004FC4: 24659290
	v_and_b32_e32 v51, 0xffff0000, v201                        // 000000004FC8: 266792FF FFFF0000
	v_pk_mul_f32 v[50:51], v[50:51], v[28:29]                  // 000000004FD0: D3B14032 18023932
	v_cvt_pk_fp8_f32 v200, v50, v51 op_sel:[0,0,1]             // 000000004FD8: D2A240C8 00026732
	v_lshlrev_b32_e32 v50, 16, v202                            // 000000004FE0: 24659490
	v_and_b32_e32 v51, 0xffff0000, v202                        // 000000004FE4: 266794FF FFFF0000
	v_pk_mul_f32 v[50:51], v[50:51], v[28:29]                  // 000000004FEC: D3B14032 18023932
	v_cvt_pk_fp8_f32 v201, v50, v51                            // 000000004FF4: D2A200C9 00026732
	v_lshlrev_b32_e32 v50, 16, v203                            // 000000004FFC: 24659690
	v_and_b32_e32 v51, 0xffff0000, v203                        // 000000005000: 266796FF FFFF0000
	v_pk_mul_f32 v[50:51], v[50:51], v[28:29]                  // 000000005008: D3B14032 18023932
	v_cvt_pk_fp8_f32 v201, v50, v51 op_sel:[0,0,1]             // 000000005010: D2A240C9 00026732
	v_lshlrev_b32_e32 v50, 16, v204                            // 000000005018: 24659890
	v_and_b32_e32 v51, 0xffff0000, v204                        // 00000000501C: 266798FF FFFF0000
	v_pk_mul_f32 v[50:51], v[50:51], v[28:29]                  // 000000005024: D3B14032 18023932
	v_cvt_pk_fp8_f32 v202, v50, v51                            // 00000000502C: D2A200CA 00026732
	v_lshlrev_b32_e32 v50, 16, v205                            // 000000005034: 24659A90
	v_and_b32_e32 v51, 0xffff0000, v205                        // 000000005038: 26679AFF FFFF0000
	v_pk_mul_f32 v[50:51], v[50:51], v[28:29]                  // 000000005040: D3B14032 18023932
	v_cvt_pk_fp8_f32 v202, v50, v51 op_sel:[0,0,1]             // 000000005048: D2A240CA 00026732
	v_lshlrev_b32_e32 v50, 16, v206                            // 000000005050: 24659C90
	v_and_b32_e32 v51, 0xffff0000, v206                        // 000000005054: 26679CFF FFFF0000
	v_pk_mul_f32 v[50:51], v[50:51], v[28:29]                  // 00000000505C: D3B14032 18023932
	v_cvt_pk_fp8_f32 v203, v50, v51                            // 000000005064: D2A200CB 00026732
	v_lshlrev_b32_e32 v50, 16, v207                            // 00000000506C: 24659E90
	v_and_b32_e32 v51, 0xffff0000, v207                        // 000000005070: 26679EFF FFFF0000
	v_pk_mul_f32 v[50:51], v[50:51], v[28:29]                  // 000000005078: D3B14032 18023932
	v_cvt_pk_fp8_f32 v203, v50, v51 op_sel:[0,0,1]             // 000000005080: D2A240CB 00026732
	v_lshlrev_b32_e32 v50, 4, v0                               // 000000005088: 24640084
	v_add_u32_e64 v50, v50, s50                                // 00000000508C: D1340032 00006532
	ds_write_b128 v50, v[200:203] offset:4224                  // 000000005094: D9BE1080 0000C832
	v_add_u32_e32 v50, 0x200, v33                              // 00000000509C: 686442FF 00000200
	s_mov_b64 s[60:61], exec                                   // 0000000050A4: BEBC017E
	s_mov_b32 s62, 0xf0f0f0f                                   // 0000000050A8: BEBE00FF 0F0F0F0F
	s_mov_b32 s63, 0xf0f0f0f                                   // 0000000050B0: BEBF00FF 0F0F0F0F
	s_mov_b64 exec, s[62:63]                                   // 0000000050B8: BEFE013E
	ds_write_b32 v50, v32 offset:8448                          // 0000000050BC: D81A2100 00002032
	s_mov_b64 exec, s[60:61]                                   // 0000000050C4: BEFE013C
	v_mul_f32_dpp v50, v24, v19 row_newbcast:0 row_mask:0xf bank_mask:0xf// 0000000050C8: 0A6426FA FF015018
	v_mov_b32_e32 v51, v50                                     // 0000000050D0: 7E660332
	v_pk_fma_f32 v[64:65], v[160:161], v[50:51], v[64:65]      // 0000000050D4: D3B04040 1D0265A0
	v_pk_fma_f32 v[66:67], v[162:163], v[50:51], v[66:67]      // 0000000050DC: D3B04042 1D0A65A2
	v_pk_fma_f32 v[72:73], v[168:169], v[50:51], v[72:73]      // 0000000050E4: D3B04048 1D2265A8
	v_pk_fma_f32 v[74:75], v[170:171], v[50:51], v[74:75]      // 0000000050EC: D3B0404A 1D2A65AA
	v_mul_f32_dpp v50, v24, v19 row_newbcast:1 row_mask:0xf bank_mask:0xf// 0000000050F4: 0A6426FA FF015118
	v_mov_b32_e32 v51, v50                                     // 0000000050FC: 7E660332
	v_pk_fma_f32 v[80:81], v[176:177], v[50:51], v[80:81]      // 000000005100: D3B04050 1D4265B0
	v_pk_fma_f32 v[82:83], v[178:179], v[50:51], v[82:83]      // 000000005108: D3B04052 1D4A65B2
	v_pk_fma_f32 v[88:89], v[184:185], v[50:51], v[88:89]      // 000000005110: D3B04058 1D6265B8
	v_pk_fma_f32 v[90:91], v[186:187], v[50:51], v[90:91]      // 000000005118: D3B0405A 1D6A65BA
	v_mul_f32_dpp v50, v24, v20 row_newbcast:0 row_mask:0xf bank_mask:0xf// 000000005120: 0A6428FA FF015018
	v_mov_b32_e32 v51, v50                                     // 000000005128: 7E660332
	v_pk_fma_f32 v[68:69], v[164:165], v[50:51], v[68:69]      // 00000000512C: D3B04044 1D1265A4
	v_pk_fma_f32 v[70:71], v[166:167], v[50:51], v[70:71]      // 000000005134: D3B04046 1D1A65A6
	v_pk_fma_f32 v[76:77], v[172:173], v[50:51], v[76:77]      // 00000000513C: D3B0404C 1D3265AC
	v_pk_fma_f32 v[78:79], v[174:175], v[50:51], v[78:79]      // 000000005144: D3B0404E 1D3A65AE
	v_mul_f32_dpp v50, v24, v20 row_newbcast:1 row_mask:0xf bank_mask:0xf// 00000000514C: 0A6428FA FF015118
	v_mov_b32_e32 v51, v50                                     // 000000005154: 7E660332
	v_pk_fma_f32 v[84:85], v[180:181], v[50:51], v[84:85]      // 000000005158: D3B04054 1D5265B4
	v_pk_fma_f32 v[86:87], v[182:183], v[50:51], v[86:87]      // 000000005160: D3B04056 1D5A65B6
	v_pk_fma_f32 v[92:93], v[188:189], v[50:51], v[92:93]      // 000000005168: D3B0405C 1D7265BC
	v_pk_fma_f32 v[94:95], v[190:191], v[50:51], v[94:95]      // 000000005170: D3B0405E 1D7A65BE
	s_waitcnt vmcnt(13)                                        // 000000005178: BF8C0F7D
	v_mfma_f32_16x16x128_f8f6f4 v[160:163], a[96:103], v[232:239], 0// 00000000517C: D3AD00A0 0A03D160
	s_waitcnt lgkmcnt(0)                                       // 000000005184: BF8CC07F
	s_barrier                                                  // 000000005188: BF8A0000
	ds_read_b128 v[192:195], v2                                // 00000000518C: D9FE0000 C0000002
	ds_read_b128 v[196:199], v2 offset:64                      // 000000005194: D9FE0040 C4000002
	ds_read_b32 v15, v3 offset:8448                            // 00000000519C: D86C2100 0F000003
	v_mfma_f32_16x16x128_f8f6f4 v[164:167], a[96:103], v[248:255], 0// 0000000051A4: D3AD00A4 0A03F160
	buffer_load_dwordx4 a[32:35], v38, s[24:27], 0 offen offset:2048// 0000000051AC: E05C1800 80862026
	buffer_load_dwordx4 a[36:39], v38, s[24:27], 0 offen offset:3072// 0000000051B4: E05C1C00 80862426
	v_mfma_f32_16x16x128_f8f6f4 v[168:171], a[104:111], v[232:239], 0// 0000000051BC: D3AD00A8 0A03D168
	ds_read_b128 v[200:203], v2 offset:4224                    // 0000000051C4: D9FE1080 C8000002
	ds_read_b128 v[204:207], v2 offset:4288                    // 0000000051CC: D9FE10C0 CC000002
	ds_read_b32 v16, v3 offset:8704                            // 0000000051D4: D86C2200 10000003
	v_mfma_f32_16x16x128_f8f6f4 v[172:175], a[104:111], v[248:255], 0// 0000000051DC: D3AD00AC 0A03F168
	buffer_load_dwordx4 a[40:43], v39, s[24:27], 0 offen offset:2048// 0000000051E4: E05C1800 80862827
	buffer_load_dwordx4 a[44:47], v39, s[24:27], 0 offen offset:3072// 0000000051EC: E05C1C00 80862C27
	s_waitcnt vmcnt(13)                                        // 0000000051F4: BF8C0F7D
	v_mfma_f32_16x16x128_f8f6f4 v[176:179], a[112:119], v[232:239], 0// 0000000051F8: D3AD00B0 0A03D170
	ds_read_b128 v[208:211], v2 offset:512                     // 000000005200: D9FE0200 D0000002
	ds_read_b128 v[212:215], v2 offset:576                     // 000000005208: D9FE0240 D4000002
	ds_read_b32 v17, v3 offset:8960                            // 000000005210: D86C2300 11000003
	v_mfma_f32_16x16x128_f8f6f4 v[180:183], a[112:119], v[248:255], 0// 000000005218: D3AD00B4 0A03F170
	buffer_load_dwordx4 a[48:51], v40, s[24:27], 0 offen offset:2048// 000000005220: E05C1800 80863028
	buffer_load_dwordx4 a[52:55], v40, s[24:27], 0 offen offset:3072// 000000005228: E05C1C00 80863428
	v_mfma_f32_16x16x128_f8f6f4 v[184:187], a[120:127], v[232:239], 0// 000000005230: D3AD00B8 0A03D178
	ds_read_b128 v[216:219], v2 offset:4736                    // 000000005238: D9FE1280 D8000002
	ds_read_b128 v[220:223], v2 offset:4800                    // 000000005240: D9FE12C0 DC000002
	ds_read_b32 v18, v3 offset:9216                            // 000000005248: D86C2400 12000003
	v_mfma_f32_16x16x128_f8f6f4 v[188:191], a[120:127], v[248:255], 0// 000000005250: D3AD00BC 0A03F178
	buffer_load_dwordx4 a[56:59], v41, s[24:27], 0 offen offset:2048// 000000005258: E05C1800 80863829
	buffer_load_dwordx4 a[60:63], v41, s[24:27], 0 offen offset:3072// 000000005260: E05C1C00 80863C29
	v_mul_f32_dpp v50, v24, v21 row_newbcast:2 row_mask:0xf bank_mask:0xf// 000000005268: 0A642AFA FF015218
	v_mov_b32_e32 v51, v50                                     // 000000005270: 7E660332
	v_pk_fma_f32 v[64:65], v[160:161], v[50:51], v[64:65]      // 000000005274: D3B04040 1D0265A0
	v_pk_fma_f32 v[66:67], v[162:163], v[50:51], v[66:67]      // 00000000527C: D3B04042 1D0A65A2
	v_pk_fma_f32 v[72:73], v[168:169], v[50:51], v[72:73]      // 000000005284: D3B04048 1D2265A8
	v_pk_fma_f32 v[74:75], v[170:171], v[50:51], v[74:75]      // 00000000528C: D3B0404A 1D2A65AA
	v_mul_f32_dpp v50, v24, v21 row_newbcast:3 row_mask:0xf bank_mask:0xf// 000000005294: 0A642AFA FF015318
	v_mov_b32_e32 v51, v50                                     // 00000000529C: 7E660332
	v_pk_fma_f32 v[80:81], v[176:177], v[50:51], v[80:81]      // 0000000052A0: D3B04050 1D4265B0
	v_pk_fma_f32 v[82:83], v[178:179], v[50:51], v[82:83]      // 0000000052A8: D3B04052 1D4A65B2
	v_pk_fma_f32 v[88:89], v[184:185], v[50:51], v[88:89]      // 0000000052B0: D3B04058 1D6265B8
	v_pk_fma_f32 v[90:91], v[186:187], v[50:51], v[90:91]      // 0000000052B8: D3B0405A 1D6A65BA
	v_mul_f32_dpp v50, v24, v22 row_newbcast:2 row_mask:0xf bank_mask:0xf// 0000000052C0: 0A642CFA FF015218
	v_mov_b32_e32 v51, v50                                     // 0000000052C8: 7E660332
	v_pk_fma_f32 v[68:69], v[164:165], v[50:51], v[68:69]      // 0000000052CC: D3B04044 1D1265A4
	v_pk_fma_f32 v[70:71], v[166:167], v[50:51], v[70:71]      // 0000000052D4: D3B04046 1D1A65A6
	v_pk_fma_f32 v[76:77], v[172:173], v[50:51], v[76:77]      // 0000000052DC: D3B0404C 1D3265AC
	v_pk_fma_f32 v[78:79], v[174:175], v[50:51], v[78:79]      // 0000000052E4: D3B0404E 1D3A65AE
	v_mul_f32_dpp v50, v24, v22 row_newbcast:3 row_mask:0xf bank_mask:0xf// 0000000052EC: 0A642CFA FF015318
	v_mov_b32_e32 v51, v50                                     // 0000000052F4: 7E660332
	v_pk_fma_f32 v[84:85], v[180:181], v[50:51], v[84:85]      // 0000000052F8: D3B04054 1D5265B4
	v_pk_fma_f32 v[86:87], v[182:183], v[50:51], v[86:87]      // 000000005300: D3B04056 1D5A65B6
	v_pk_fma_f32 v[92:93], v[188:189], v[50:51], v[92:93]      // 000000005308: D3B0405C 1D7265BC
	v_pk_fma_f32 v[94:95], v[190:191], v[50:51], v[94:95]      // 000000005310: D3B0405E 1D7A65BE
	s_add_u32 s60, 0x200, s80                                  // 000000005318: 803C50FF 00000200
	s_cmp_lt_u32 s60, s81                                      // 000000005320: BF0A513C
	s_cselect_b32 s57, s57, 0                                  // 000000005324: 85398039
	s_add_u32 s60, 0x200, s80                                  // 000000005328: 803C50FF 00000200
	s_cmp_lt_u32 s60, s81                                      // 000000005330: BF0A513C
	s_cselect_b32 s58, s58, 0                                  // 000000005334: 853A803A
	s_add_u32 s20, s57, s20                                    // 000000005338: 80141439
	s_addc_u32 s21, 0, s21                                     // 00000000533C: 82151580
	s_add_u32 s24, s58, s24                                    // 000000005340: 8018183A
	s_addc_u32 s25, 0, s25                                     // 000000005344: 82191980
	s_add_u32 s92, s90, s92                                    // 000000005348: 805C5C5A
	s_addc_u32 s93, 0, s93                                     // 00000000534C: 825D5D80
	s_addk_i32 s80, 0x100                                      // 000000005350: B7500100
	s_cmp_lt_i32 s80, s81                                      // 000000005354: BF045150
	s_cbranch_scc0 label_0958                                  // 000000005358: BF840001
	s_branch label_042B                                        // 00000000535C: BF82FAD3

0000000000005360 <label_0958>:
	s_mov_b32 s20, 0                                           // 000000005360: BE940080
	s_cmp_lt_u32 s89, s66                                      // 000000005364: BF0A4259
	s_cselect_b32 s60, 0, 1                                    // 000000005368: 853C8180
	s_lshl1_add_u32 s20, s20, s60                              // 00000000536C: 97143C14
	s_cmp_lt_u32 s88, s66                                      // 000000005370: BF0A4258
	s_cselect_b32 s60, 0, 1                                    // 000000005374: 853C8180
	s_lshl1_add_u32 s20, s20, s60                              // 000000005378: 97143C14
	s_cmp_lt_u32 s87, s66                                      // 00000000537C: BF0A4257
	s_cselect_b32 s60, 0, 1                                    // 000000005380: 853C8180
	s_lshl1_add_u32 s20, s20, s60                              // 000000005384: 97143C14
	s_cmp_lt_u32 s86, s66                                      // 000000005388: BF0A4256
	s_cselect_b32 s60, 0, 1                                    // 00000000538C: 853C8180
	s_lshl1_add_u32 s20, s20, s60                              // 000000005390: 97143C14
	s_cmp_lt_u32 s85, s66                                      // 000000005394: BF0A4255
	s_cselect_b32 s60, 0, 1                                    // 000000005398: 853C8180
	s_lshl1_add_u32 s20, s20, s60                              // 00000000539C: 97143C14
	s_cmp_lt_u32 s84, s66                                      // 0000000053A0: BF0A4254
	s_cselect_b32 s60, 0, 1                                    // 0000000053A4: 853C8180
	s_lshl1_add_u32 s20, s20, s60                              // 0000000053A8: 97143C14
	s_cmp_lt_u32 s83, s66                                      // 0000000053AC: BF0A4253
	s_cselect_b32 s60, 0, 1                                    // 0000000053B0: 853C8180
	s_lshl1_add_u32 s20, s20, s60                              // 0000000053B4: 97143C14
	s_cmp_lt_u32 s82, s66                                      // 0000000053B8: BF0A4252
	s_cselect_b32 s60, 0, 1                                    // 0000000053BC: 853C8180
	s_lshl1_add_u32 s20, s20, s60                              // 0000000053C0: 97143C14
	s_waitcnt vmcnt(12)                                        // 0000000053C4: BF8C0F7C
	buffer_load_dwordx4 a[0:3], v42, s[12:15], 0 offen         // 0000000053C8: E05C1000 8083002A
	v_mul_f32_e64 v50, -v128, s6                               // 0000000053D0: D1050032 20000D80
	v_mul_f32_e64 v51, -v129, s6                               // 0000000053D8: D1050033 20000D81
	v_mul_f32_e64 v52, -v130, s6                               // 0000000053E0: D1050034 20000D82
	v_mul_f32_e64 v53, -v131, s6                               // 0000000053E8: D1050035 20000D83
	v_exp_f32_e32 v50, v50                                     // 0000000053F0: 7E644132
	v_exp_f32_e32 v51, v51                                     // 0000000053F4: 7E664133
	v_exp_f32_e32 v52, v52                                     // 0000000053F8: 7E684134
	v_exp_f32_e32 v53, v53                                     // 0000000053FC: 7E6A4135
	buffer_load_dwordx4 a[4:7], v42, s[12:15], 0 offen offset:1024// 000000005400: E05C1400 8083042A
	v_add_f32_e64 v50, v50, 1.0                                // 000000005408: D1010032 0001E532
	v_add_f32_e64 v51, v51, 1.0                                // 000000005410: D1010033 0001E533
	v_add_f32_e64 v52, v52, 1.0                                // 000000005418: D1010034 0001E534
	v_add_f32_e64 v53, v53, 1.0                                // 000000005420: D1010035 0001E535
	v_rcp_f32_e32 v50, v50                                     // 000000005428: 7E644532
	v_rcp_f32_e32 v51, v51                                     // 00000000542C: 7E664533
	v_rcp_f32_e32 v52, v52                                     // 000000005430: 7E684534
	v_rcp_f32_e32 v53, v53                                     // 000000005434: 7E6A4535
	v_mul_f32_e32 v128, v128, v50                              // 000000005438: 0B006580
	v_mul_f32_e32 v129, v129, v51                              // 00000000543C: 0B026781
	v_mul_f32_e32 v130, v130, v52                              // 000000005440: 0B046982
	v_mul_f32_e32 v131, v131, v53                              // 000000005444: 0B066B83
	v_mul_f32_e32 v128, v128, v64                              // 000000005448: 0B008180
	v_mul_f32_e32 v129, v129, v65                              // 00000000544C: 0B028381
	v_mul_f32_e32 v130, v130, v66                              // 000000005450: 0B048582
	v_mul_f32_e32 v131, v131, v67                              // 000000005454: 0B068783
	buffer_load_dwordx4 a[8:11], v43, s[12:15], 0 offen        // 000000005458: E05C1000 8083082B
	v_mul_f32_e64 v50, -v132, s6                               // 000000005460: D1050032 20000D84
	v_mul_f32_e64 v51, -v133, s6                               // 000000005468: D1050033 20000D85
	v_mul_f32_e64 v52, -v134, s6                               // 000000005470: D1050034 20000D86
	v_mul_f32_e64 v53, -v135, s6                               // 000000005478: D1050035 20000D87
	v_exp_f32_e32 v50, v50                                     // 000000005480: 7E644132
	v_exp_f32_e32 v51, v51                                     // 000000005484: 7E664133
	v_exp_f32_e32 v52, v52                                     // 000000005488: 7E684134
	v_exp_f32_e32 v53, v53                                     // 00000000548C: 7E6A4135
	buffer_load_dwordx4 a[12:15], v43, s[12:15], 0 offen offset:1024// 000000005490: E05C1400 80830C2B
	v_add_f32_e64 v50, v50, 1.0                                // 000000005498: D1010032 0001E532
	v_add_f32_e64 v51, v51, 1.0                                // 0000000054A0: D1010033 0001E533
	v_add_f32_e64 v52, v52, 1.0                                // 0000000054A8: D1010034 0001E534
	v_add_f32_e64 v53, v53, 1.0                                // 0000000054B0: D1010035 0001E535
	v_rcp_f32_e32 v50, v50                                     // 0000000054B8: 7E644532
	v_rcp_f32_e32 v51, v51                                     // 0000000054BC: 7E664533
	v_rcp_f32_e32 v52, v52                                     // 0000000054C0: 7E684534
	v_rcp_f32_e32 v53, v53                                     // 0000000054C4: 7E6A4535
	v_mul_f32_e32 v132, v132, v50                              // 0000000054C8: 0B086584
	v_mul_f32_e32 v133, v133, v51                              // 0000000054CC: 0B0A6785
	v_mul_f32_e32 v134, v134, v52                              // 0000000054D0: 0B0C6986
	v_mul_f32_e32 v135, v135, v53                              // 0000000054D4: 0B0E6B87
	v_mul_f32_e32 v132, v132, v68                              // 0000000054D8: 0B088984
	v_mul_f32_e32 v133, v133, v69                              // 0000000054DC: 0B0A8B85
	v_mul_f32_e32 v134, v134, v70                              // 0000000054E0: 0B0C8D86
	v_mul_f32_e32 v135, v135, v71                              // 0000000054E4: 0B0E8F87
	s_waitcnt vmcnt(12)                                        // 0000000054E8: BF8C0F7C
	buffer_load_dwordx4 a[16:19], v44, s[12:15], 0 offen       // 0000000054EC: E05C1000 8083102C
	v_mul_f32_e64 v50, -v136, s6                               // 0000000054F4: D1050032 20000D88
	v_mul_f32_e64 v51, -v137, s6                               // 0000000054FC: D1050033 20000D89
	v_mul_f32_e64 v52, -v138, s6                               // 000000005504: D1050034 20000D8A
	v_mul_f32_e64 v53, -v139, s6                               // 00000000550C: D1050035 20000D8B
	v_exp_f32_e32 v50, v50                                     // 000000005514: 7E644132
	v_exp_f32_e32 v51, v51                                     // 000000005518: 7E664133
	v_exp_f32_e32 v52, v52                                     // 00000000551C: 7E684134
	v_exp_f32_e32 v53, v53                                     // 000000005520: 7E6A4135
	buffer_load_dwordx4 a[20:23], v44, s[12:15], 0 offen offset:1024// 000000005524: E05C1400 8083142C
	v_add_f32_e64 v50, v50, 1.0                                // 00000000552C: D1010032 0001E532
	v_add_f32_e64 v51, v51, 1.0                                // 000000005534: D1010033 0001E533
	v_add_f32_e64 v52, v52, 1.0                                // 00000000553C: D1010034 0001E534
	v_add_f32_e64 v53, v53, 1.0                                // 000000005544: D1010035 0001E535
	v_rcp_f32_e32 v50, v50                                     // 00000000554C: 7E644532
	v_rcp_f32_e32 v51, v51                                     // 000000005550: 7E664533
	v_rcp_f32_e32 v52, v52                                     // 000000005554: 7E684534
	v_rcp_f32_e32 v53, v53                                     // 000000005558: 7E6A4535
	v_mul_f32_e32 v136, v136, v50                              // 00000000555C: 0B106588
	v_mul_f32_e32 v137, v137, v51                              // 000000005560: 0B126789
	v_mul_f32_e32 v138, v138, v52                              // 000000005564: 0B14698A
	v_mul_f32_e32 v139, v139, v53                              // 000000005568: 0B166B8B
	v_mul_f32_e32 v136, v136, v72                              // 00000000556C: 0B109188
	v_mul_f32_e32 v137, v137, v73                              // 000000005570: 0B129389
	v_mul_f32_e32 v138, v138, v74                              // 000000005574: 0B14958A
	v_mul_f32_e32 v139, v139, v75                              // 000000005578: 0B16978B
	buffer_load_dwordx4 a[24:27], v45, s[12:15], 0 offen       // 00000000557C: E05C1000 8083182D
	v_mul_f32_e64 v50, -v140, s6                               // 000000005584: D1050032 20000D8C
	v_mul_f32_e64 v51, -v141, s6                               // 00000000558C: D1050033 20000D8D
	v_mul_f32_e64 v52, -v142, s6                               // 000000005594: D1050034 20000D8E
	v_mul_f32_e64 v53, -v143, s6                               // 00000000559C: D1050035 20000D8F
	v_exp_f32_e32 v50, v50                                     // 0000000055A4: 7E644132
	v_exp_f32_e32 v51, v51                                     // 0000000055A8: 7E664133
	v_exp_f32_e32 v52, v52                                     // 0000000055AC: 7E684134
	v_exp_f32_e32 v53, v53                                     // 0000000055B0: 7E6A4135
	buffer_load_dwordx4 a[28:31], v45, s[12:15], 0 offen offset:1024// 0000000055B4: E05C1400 80831C2D
	s_add_u32 s12, s78, s12                                    // 0000000055BC: 800C0C4E
	s_addc_u32 s13, 0, s13                                     // 0000000055C0: 820D0D80
	v_add_f32_e64 v50, v50, 1.0                                // 0000000055C4: D1010032 0001E532
	v_add_f32_e64 v51, v51, 1.0                                // 0000000055CC: D1010033 0001E533
	v_add_f32_e64 v52, v52, 1.0                                // 0000000055D4: D1010034 0001E534
	v_add_f32_e64 v53, v53, 1.0                                // 0000000055DC: D1010035 0001E535
	v_rcp_f32_e32 v50, v50                                     // 0000000055E4: 7E644532
	v_rcp_f32_e32 v51, v51                                     // 0000000055E8: 7E664533
	v_rcp_f32_e32 v52, v52                                     // 0000000055EC: 7E684534
	v_rcp_f32_e32 v53, v53                                     // 0000000055F0: 7E6A4535
	v_mul_f32_e32 v140, v140, v50                              // 0000000055F4: 0B18658C
	v_mul_f32_e32 v141, v141, v51                              // 0000000055F8: 0B1A678D
	v_mul_f32_e32 v142, v142, v52                              // 0000000055FC: 0B1C698E
	v_mul_f32_e32 v143, v143, v53                              // 000000005600: 0B1E6B8F
	v_mul_f32_e32 v140, v140, v76                              // 000000005604: 0B18998C
	v_mul_f32_e32 v141, v141, v77                              // 000000005608: 0B1A9B8D
	v_mul_f32_e32 v142, v142, v78                              // 00000000560C: 0B1C9D8E
	v_mul_f32_e32 v143, v143, v79                              // 000000005610: 0B1E9F8F
	s_waitcnt vmcnt(12)                                        // 000000005614: BF8C0F7C
	buffer_load_dwordx4 a[32:35], v42, s[12:15], 0 offen       // 000000005618: E05C1000 8083202A
	v_mul_f32_e64 v50, -v144, s6                               // 000000005620: D1050032 20000D90
	v_mul_f32_e64 v51, -v145, s6                               // 000000005628: D1050033 20000D91
	v_mul_f32_e64 v52, -v146, s6                               // 000000005630: D1050034 20000D92
	v_mul_f32_e64 v53, -v147, s6                               // 000000005638: D1050035 20000D93
	v_exp_f32_e32 v50, v50                                     // 000000005640: 7E644132
	v_exp_f32_e32 v51, v51                                     // 000000005644: 7E664133
	v_exp_f32_e32 v52, v52                                     // 000000005648: 7E684134
	v_exp_f32_e32 v53, v53                                     // 00000000564C: 7E6A4135
	buffer_load_dwordx4 a[36:39], v42, s[12:15], 0 offen offset:1024// 000000005650: E05C1400 8083242A
	v_add_f32_e64 v50, v50, 1.0                                // 000000005658: D1010032 0001E532
	v_add_f32_e64 v51, v51, 1.0                                // 000000005660: D1010033 0001E533
	v_add_f32_e64 v52, v52, 1.0                                // 000000005668: D1010034 0001E534
	v_add_f32_e64 v53, v53, 1.0                                // 000000005670: D1010035 0001E535
	v_rcp_f32_e32 v50, v50                                     // 000000005678: 7E644532
	v_rcp_f32_e32 v51, v51                                     // 00000000567C: 7E664533
	v_rcp_f32_e32 v52, v52                                     // 000000005680: 7E684534
	v_rcp_f32_e32 v53, v53                                     // 000000005684: 7E6A4535
	v_mul_f32_e32 v144, v144, v50                              // 000000005688: 0B206590
	v_mul_f32_e32 v145, v145, v51                              // 00000000568C: 0B226791
	v_mul_f32_e32 v146, v146, v52                              // 000000005690: 0B246992
	v_mul_f32_e32 v147, v147, v53                              // 000000005694: 0B266B93
	v_mul_f32_e32 v144, v144, v80                              // 000000005698: 0B20A190
	v_mul_f32_e32 v145, v145, v81                              // 00000000569C: 0B22A391
	v_mul_f32_e32 v146, v146, v82                              // 0000000056A0: 0B24A592
	v_mul_f32_e32 v147, v147, v83                              // 0000000056A4: 0B26A793
	buffer_load_dwordx4 a[40:43], v43, s[12:15], 0 offen       // 0000000056A8: E05C1000 8083282B
	v_mul_f32_e64 v50, -v148, s6                               // 0000000056B0: D1050032 20000D94
	v_mul_f32_e64 v51, -v149, s6                               // 0000000056B8: D1050033 20000D95
	v_mul_f32_e64 v52, -v150, s6                               // 0000000056C0: D1050034 20000D96
	v_mul_f32_e64 v53, -v151, s6                               // 0000000056C8: D1050035 20000D97
	v_exp_f32_e32 v50, v50                                     // 0000000056D0: 7E644132
	v_exp_f32_e32 v51, v51                                     // 0000000056D4: 7E664133
	v_exp_f32_e32 v52, v52                                     // 0000000056D8: 7E684134
	v_exp_f32_e32 v53, v53                                     // 0000000056DC: 7E6A4135
	buffer_load_dwordx4 a[44:47], v43, s[12:15], 0 offen offset:1024// 0000000056E0: E05C1400 80832C2B
	v_add_f32_e64 v50, v50, 1.0                                // 0000000056E8: D1010032 0001E532
	v_add_f32_e64 v51, v51, 1.0                                // 0000000056F0: D1010033 0001E533
	v_add_f32_e64 v52, v52, 1.0                                // 0000000056F8: D1010034 0001E534
	v_add_f32_e64 v53, v53, 1.0                                // 000000005700: D1010035 0001E535
	v_rcp_f32_e32 v50, v50                                     // 000000005708: 7E644532
	v_rcp_f32_e32 v51, v51                                     // 00000000570C: 7E664533
	v_rcp_f32_e32 v52, v52                                     // 000000005710: 7E684534
	v_rcp_f32_e32 v53, v53                                     // 000000005714: 7E6A4535
	v_mul_f32_e32 v148, v148, v50                              // 000000005718: 0B286594
	v_mul_f32_e32 v149, v149, v51                              // 00000000571C: 0B2A6795
	v_mul_f32_e32 v150, v150, v52                              // 000000005720: 0B2C6996
	v_mul_f32_e32 v151, v151, v53                              // 000000005724: 0B2E6B97
	v_mul_f32_e32 v148, v148, v84                              // 000000005728: 0B28A994
	v_mul_f32_e32 v149, v149, v85                              // 00000000572C: 0B2AAB95
	v_mul_f32_e32 v150, v150, v86                              // 000000005730: 0B2CAD96
	v_mul_f32_e32 v151, v151, v87                              // 000000005734: 0B2EAF97
	s_waitcnt vmcnt(12)                                        // 000000005738: BF8C0F7C
	buffer_load_dwordx4 a[48:51], v44, s[12:15], 0 offen       // 00000000573C: E05C1000 8083302C
	v_mul_f32_e64 v50, -v152, s6                               // 000000005744: D1050032 20000D98
	v_mul_f32_e64 v51, -v153, s6                               // 00000000574C: D1050033 20000D99
	v_mul_f32_e64 v52, -v154, s6                               // 000000005754: D1050034 20000D9A
	v_mul_f32_e64 v53, -v155, s6                               // 00000000575C: D1050035 20000D9B
	v_exp_f32_e32 v50, v50                                     // 000000005764: 7E644132
	v_exp_f32_e32 v51, v51                                     // 000000005768: 7E664133
	v_exp_f32_e32 v52, v52                                     // 00000000576C: 7E684134
	v_exp_f32_e32 v53, v53                                     // 000000005770: 7E6A4135
	buffer_load_dwordx4 a[52:55], v44, s[12:15], 0 offen offset:1024// 000000005774: E05C1400 8083342C
	v_add_f32_e64 v50, v50, 1.0                                // 00000000577C: D1010032 0001E532
	v_add_f32_e64 v51, v51, 1.0                                // 000000005784: D1010033 0001E533
	v_add_f32_e64 v52, v52, 1.0                                // 00000000578C: D1010034 0001E534
	v_add_f32_e64 v53, v53, 1.0                                // 000000005794: D1010035 0001E535
	v_rcp_f32_e32 v50, v50                                     // 00000000579C: 7E644532
	v_rcp_f32_e32 v51, v51                                     // 0000000057A0: 7E664533
	v_rcp_f32_e32 v52, v52                                     // 0000000057A4: 7E684534
	v_rcp_f32_e32 v53, v53                                     // 0000000057A8: 7E6A4535
	v_mul_f32_e32 v152, v152, v50                              // 0000000057AC: 0B306598
	v_mul_f32_e32 v153, v153, v51                              // 0000000057B0: 0B326799
	v_mul_f32_e32 v154, v154, v52                              // 0000000057B4: 0B34699A
	v_mul_f32_e32 v155, v155, v53                              // 0000000057B8: 0B366B9B
	v_mul_f32_e32 v152, v152, v88                              // 0000000057BC: 0B30B198
	v_mul_f32_e32 v153, v153, v89                              // 0000000057C0: 0B32B399
	v_mul_f32_e32 v154, v154, v90                              // 0000000057C4: 0B34B59A
	v_mul_f32_e32 v155, v155, v91                              // 0000000057C8: 0B36B79B
	buffer_load_dwordx4 a[56:59], v45, s[12:15], 0 offen       // 0000000057CC: E05C1000 8083382D
	v_mul_f32_e64 v50, -v156, s6                               // 0000000057D4: D1050032 20000D9C
	v_mul_f32_e64 v51, -v157, s6                               // 0000000057DC: D1050033 20000D9D
	v_mul_f32_e64 v52, -v158, s6                               // 0000000057E4: D1050034 20000D9E
	v_mul_f32_e64 v53, -v159, s6                               // 0000000057EC: D1050035 20000D9F
	v_exp_f32_e32 v50, v50                                     // 0000000057F4: 7E644132
	v_exp_f32_e32 v51, v51                                     // 0000000057F8: 7E664133
	v_exp_f32_e32 v52, v52                                     // 0000000057FC: 7E684134
	v_exp_f32_e32 v53, v53                                     // 000000005800: 7E6A4135
	buffer_load_dwordx4 a[60:63], v45, s[12:15], 0 offen offset:1024// 000000005804: E05C1400 80833C2D
	v_add_f32_e64 v50, v50, 1.0                                // 00000000580C: D1010032 0001E532
	v_add_f32_e64 v51, v51, 1.0                                // 000000005814: D1010033 0001E533
	v_add_f32_e64 v52, v52, 1.0                                // 00000000581C: D1010034 0001E534
	v_add_f32_e64 v53, v53, 1.0                                // 000000005824: D1010035 0001E535
	v_rcp_f32_e32 v50, v50                                     // 00000000582C: 7E644532
	v_rcp_f32_e32 v51, v51                                     // 000000005830: 7E664533
	v_rcp_f32_e32 v52, v52                                     // 000000005834: 7E684534
	v_rcp_f32_e32 v53, v53                                     // 000000005838: 7E6A4535
	v_mul_f32_e32 v156, v156, v50                              // 00000000583C: 0B38659C
	v_mul_f32_e32 v157, v157, v51                              // 000000005840: 0B3A679D
	v_mul_f32_e32 v158, v158, v52                              // 000000005844: 0B3C699E
	v_mul_f32_e32 v159, v159, v53                              // 000000005848: 0B3E6B9F
	v_mul_f32_e32 v156, v156, v92                              // 00000000584C: 0B38B99C
	v_mul_f32_e32 v157, v157, v93                              // 000000005850: 0B3ABB9D
	v_mul_f32_e32 v158, v158, v94                              // 000000005854: 0B3CBD9E
	v_mul_f32_e32 v159, v159, v95                              // 000000005858: 0B3EBF9F
	v_lshlrev_b32_e32 v50, 2, v0                               // 00000000585C: 24640082
	s_mul_i32 s60, s82, s71                                    // 000000005860: 923C4752
	v_add_u32_e64 v80, v50, s60                                // 000000005864: D1340050 00007932
	v_mov_b32_e32 v81, 0                                       // 00000000586C: 7EA20280
	s_mul_i32 s60, s83, s71                                    // 000000005870: 923C4753
	v_add_u32_e64 v82, v50, s60                                // 000000005874: D1340052 00007932
	v_mov_b32_e32 v83, 0                                       // 00000000587C: 7EA60280
	s_mul_i32 s60, s84, s71                                    // 000000005880: 923C4754
	v_add_u32_e64 v84, v50, s60                                // 000000005884: D1340054 00007932
	v_mov_b32_e32 v85, 0                                       // 00000000588C: 7EAA0280
	s_mul_i32 s60, s85, s71                                    // 000000005890: 923C4755
	v_add_u32_e64 v86, v50, s60                                // 000000005894: D1340056 00007932
	v_mov_b32_e32 v87, 0                                       // 00000000589C: 7EAE0280
	s_mul_i32 s60, s86, s71                                    // 0000000058A0: 923C4756
	v_add_u32_e64 v88, v50, s60                                // 0000000058A4: D1340058 00007932
	v_mov_b32_e32 v89, 0                                       // 0000000058AC: 7EB20280
	s_mul_i32 s60, s87, s71                                    // 0000000058B0: 923C4757
	v_add_u32_e64 v90, v50, s60                                // 0000000058B4: D134005A 00007932
	v_mov_b32_e32 v91, 0                                       // 0000000058BC: 7EB60280
	s_mul_i32 s60, s88, s71                                    // 0000000058C0: 923C4758
	v_add_u32_e64 v92, v50, s60                                // 0000000058C4: D134005C 00007932
	v_mov_b32_e32 v93, 0                                       // 0000000058CC: 7EBA0280
	s_mul_i32 s60, s89, s71                                    // 0000000058D0: 923C4759
	v_add_u32_e64 v94, v50, s60                                // 0000000058D4: D134005E 00007932
	v_mov_b32_e32 v95, 0                                       // 0000000058DC: 7EBE0280
	buffer_load_dword v23, v6, s[16:19], 0 offen               // 0000000058E0: E0501000 80041706
	v_mov_b32_e32 v28, 0x358637bd                              // 0000000058E8: 7E3802FF 358637BD
	v_mov_b32_e32 v29, 0x358637bd                              // 0000000058F0: 7E3A02FF 358637BD
	v_max3_f32 v28, |v128|, |v129|, v28                        // 0000000058F8: D1D3031C 04730380
	v_max3_f32 v28, |v130|, |v131|, v28                        // 000000005900: D1D3031C 04730782
	v_max3_f32 v29, |v132|, |v133|, v29                        // 000000005908: D1D3031D 04770B84
	v_max3_f32 v29, |v134|, |v135|, v29                        // 000000005910: D1D3031D 04770F86
	v_max3_f32 v28, |v136|, |v137|, v28                        // 000000005918: D1D3031C 04731388
	v_max3_f32 v28, |v138|, |v139|, v28                        // 000000005920: D1D3031C 0473178A
	v_max3_f32 v29, |v140|, |v141|, v29                        // 000000005928: D1D3031D 04771B8C
	v_max3_f32 v29, |v142|, |v143|, v29                        // 000000005930: D1D3031D 04771F8E
	v_mov_b32_e32 v50, v28                                     // 000000005938: 7E64031C
	s_nop 1                                                    // 00000000593C: BF800001
	v_permlane32_swap_b32_e32 v50, v28                         // 000000005940: 7E64B51C
	v_max_f32_e32 v28, v50, v28                                // 000000005944: 16383932
	v_mov_b32_e32 v50, v28                                     // 000000005948: 7E64031C
	s_nop 1                                                    // 00000000594C: BF800001
	v_permlane16_swap_b32_e32 v50, v28                         // 000000005950: 7E64B31C
	v_max_f32_e32 v28, v50, v28                                // 000000005954: 16383932
	v_mov_b32_e32 v50, v29                                     // 000000005958: 7E64031D
	s_nop 1                                                    // 00000000595C: BF800001
	v_permlane32_swap_b32_e32 v50, v29                         // 000000005960: 7E64B51D
	v_max_f32_e32 v29, v50, v29                                // 000000005964: 163A3B32
	v_mov_b32_e32 v50, v29                                     // 000000005968: 7E64031D
	s_nop 1                                                    // 00000000596C: BF800001
	v_permlane16_swap_b32_e32 v50, v29                         // 000000005970: 7E64B31D
	v_max_f32_e32 v29, v50, v29                                // 000000005974: 163A3B32
	v_lshlrev_b32_e32 v50, 2, v0                               // 000000005978: 24640082
	s_mul_i32 s60, 64, s7                                      // 00000000597C: 923C07C0
	v_add_u32_e32 v50, s60, v50                                // 000000005980: 6864643C
	s_mov_b32 s60, 0xffff                                      // 000000005984: BEBC00FF 0000FFFF
	s_mov_b32 s61, 0                                           // 00000000598C: BEBD0080
	s_mov_b64 exec, s[60:61]                                   // 000000005990: BEFE013C
	ds_write_b32 v50, v28 offset:18944                         // 000000005994: D81A4A00 00001C32
	ds_write_b32 v50, v29 offset:19200                         // 00000000599C: D81A4B00 00001D32
	s_mov_b32 s60, -1                                          // 0000000059A4: BEBC00C1
	s_mov_b32 s61, -1                                          // 0000000059A8: BEBD00C1
	s_mov_b64 exec, s[60:61]                                   // 0000000059AC: BEFE013C
	s_waitcnt lgkmcnt(0)                                       // 0000000059B0: BF8CC07F
	s_barrier                                                  // 0000000059B4: BF8A0000
	v_lshlrev_b32_e32 v50, 2, v0                               // 0000000059B8: 24640082
	ds_read_b32 v160, v50 offset:18944                         // 0000000059BC: D86C4A00 A0000032
	ds_read_b32 v161, v50 offset:19200                         // 0000000059C4: D86C4B00 A1000032
	s_waitcnt lgkmcnt(0)                                       // 0000000059CC: BF8CC07F
	v_mov_b32_e32 v50, v160                                    // 0000000059D0: 7E6403A0
	s_nop 1                                                    // 0000000059D4: BF800001
	v_permlane32_swap_b32_e32 v50, v160                        // 0000000059D8: 7E64B5A0
	v_max_f32_e32 v160, v50, v160                              // 0000000059DC: 17414132
	v_mov_b32_e32 v50, v160                                    // 0000000059E0: 7E6403A0
	s_nop 1                                                    // 0000000059E4: BF800001
	v_permlane16_swap_b32_e32 v50, v160                        // 0000000059E8: 7E64B3A0
	v_max_f32_e32 v160, v50, v160                              // 0000000059EC: 17414132
	v_mov_b32_e32 v50, v161                                    // 0000000059F0: 7E6403A1
	s_nop 1                                                    // 0000000059F4: BF800001
	v_permlane32_swap_b32_e32 v50, v161                        // 0000000059F8: 7E64B5A1
	v_max_f32_e32 v161, v50, v161                              // 0000000059FC: 17434332
	v_mov_b32_e32 v50, v161                                    // 000000005A00: 7E6403A1
	s_nop 1                                                    // 000000005A04: BF800001
	v_permlane16_swap_b32_e32 v50, v161                        // 000000005A08: 7E64B3A1
	v_max_f32_e32 v161, v50, v161                              // 000000005A0C: 17434332
	v_max_f32_e32 v28, v160, v28                               // 000000005A10: 163839A0
	v_max_f32_e32 v29, v161, v29                               // 000000005A14: 163A3BA1
	v_rcp_f32_e32 v28, v28                                     // 000000005A18: 7E38451C
	v_rcp_f32_e32 v29, v29                                     // 000000005A1C: 7E3A451D
	v_mov_b32_e32 v50, 0x43e00000                              // 000000005A20: 7E6402FF 43E00000
	v_mul_f32_e32 v28, v50, v28                                // 000000005A28: 0A383932
	v_mul_f32_e32 v29, v50, v29                                // 000000005A2C: 0A3A3B32
	v_mul_f32_e32 v128, v28, v128                              // 000000005A30: 0B01011C
	v_mul_f32_e32 v129, v28, v129                              // 000000005A34: 0B03031C
	v_mul_f32_e32 v130, v28, v130                              // 000000005A38: 0B05051C
	v_mul_f32_e32 v131, v28, v131                              // 000000005A3C: 0B07071C
	v_cvt_pk_fp8_f32 v128, v128, v129                          // 000000005A40: D2A20080 00030380
	v_cvt_pk_fp8_f32 v128, v130, v131 op_sel:[0,0,1]           // 000000005A48: D2A24080 00030782
	v_mul_f32_e32 v132, v29, v132                              // 000000005A50: 0B09091D
	v_mul_f32_e32 v133, v29, v133                              // 000000005A54: 0B0B0B1D
	v_mul_f32_e32 v134, v29, v134                              // 000000005A58: 0B0D0D1D
	v_mul_f32_e32 v135, v29, v135                              // 000000005A5C: 0B0F0F1D
	v_cvt_pk_fp8_f32 v129, v132, v133                          // 000000005A60: D2A20081 00030B84
	v_cvt_pk_fp8_f32 v129, v134, v135 op_sel:[0,0,1]           // 000000005A68: D2A24081 00030F86
	v_mul_f32_e32 v136, v28, v136                              // 000000005A70: 0B11111C
	v_mul_f32_e32 v137, v28, v137                              // 000000005A74: 0B13131C
	v_mul_f32_e32 v138, v28, v138                              // 000000005A78: 0B15151C
	v_mul_f32_e32 v139, v28, v139                              // 000000005A7C: 0B17171C
	v_cvt_pk_fp8_f32 v130, v136, v137                          // 000000005A80: D2A20082 00031388
	v_cvt_pk_fp8_f32 v130, v138, v139 op_sel:[0,0,1]           // 000000005A88: D2A24082 0003178A
	v_mul_f32_e32 v140, v29, v140                              // 000000005A90: 0B19191D
	v_mul_f32_e32 v141, v29, v141                              // 000000005A94: 0B1B1B1D
	v_mul_f32_e32 v142, v29, v142                              // 000000005A98: 0B1D1D1D
	v_mul_f32_e32 v143, v29, v143                              // 000000005A9C: 0B1F1F1D
	v_cvt_pk_fp8_f32 v131, v140, v141                          // 000000005AA0: D2A20083 00031B8C
	v_cvt_pk_fp8_f32 v131, v142, v143 op_sel:[0,0,1]           // 000000005AA8: D2A24083 00031F8E
	v_rcp_f32_e32 v32, v28                                     // 000000005AB0: 7E40451C
	v_rcp_f32_e32 v33, v29                                     // 000000005AB4: 7E42451D
	v_mov_b32_e32 v30, 0x358637bd                              // 000000005AB8: 7E3C02FF 358637BD
	v_mov_b32_e32 v31, 0x358637bd                              // 000000005AC0: 7E3E02FF 358637BD
	v_max3_f32 v30, |v144|, |v145|, v30                        // 000000005AC8: D1D3031E 047B2390
	v_max3_f32 v30, |v146|, |v147|, v30                        // 000000005AD0: D1D3031E 047B2792
	v_max3_f32 v31, |v148|, |v149|, v31                        // 000000005AD8: D1D3031F 047F2B94
	v_max3_f32 v31, |v150|, |v151|, v31                        // 000000005AE0: D1D3031F 047F2F96
	v_max3_f32 v30, |v152|, |v153|, v30                        // 000000005AE8: D1D3031E 047B3398
	v_max3_f32 v30, |v154|, |v155|, v30                        // 000000005AF0: D1D3031E 047B379A
	v_max3_f32 v31, |v156|, |v157|, v31                        // 000000005AF8: D1D3031F 047F3B9C
	v_max3_f32 v31, |v158|, |v159|, v31                        // 000000005B00: D1D3031F 047F3F9E
	v_mov_b32_e32 v50, v30                                     // 000000005B08: 7E64031E
	s_nop 1                                                    // 000000005B0C: BF800001
	v_permlane32_swap_b32_e32 v50, v30                         // 000000005B10: 7E64B51E
	v_max_f32_e32 v30, v50, v30                                // 000000005B14: 163C3D32
	v_mov_b32_e32 v50, v30                                     // 000000005B18: 7E64031E
	s_nop 1                                                    // 000000005B1C: BF800001
	v_permlane16_swap_b32_e32 v50, v30                         // 000000005B20: 7E64B31E
	v_max_f32_e32 v30, v50, v30                                // 000000005B24: 163C3D32
	v_mov_b32_e32 v50, v31                                     // 000000005B28: 7E64031F
	s_nop 1                                                    // 000000005B2C: BF800001
	v_permlane32_swap_b32_e32 v50, v31                         // 000000005B30: 7E64B51F
	v_max_f32_e32 v31, v50, v31                                // 000000005B34: 163E3F32
	v_mov_b32_e32 v50, v31                                     // 000000005B38: 7E64031F
	s_nop 1                                                    // 000000005B3C: BF800001
	v_permlane16_swap_b32_e32 v50, v31                         // 000000005B40: 7E64B31F
	v_max_f32_e32 v31, v50, v31                                // 000000005B44: 163E3F32
	v_lshlrev_b32_e32 v50, 2, v0                               // 000000005B48: 24640082
	s_mul_i32 s60, 64, s7                                      // 000000005B4C: 923C07C0
	v_add_u32_e32 v50, s60, v50                                // 000000005B50: 6864643C
	s_mov_b32 s60, 0xffff                                      // 000000005B54: BEBC00FF 0000FFFF
	s_mov_b32 s61, 0                                           // 000000005B5C: BEBD0080
	s_mov_b64 exec, s[60:61]                                   // 000000005B60: BEFE013C
	ds_write_b32 v50, v30 offset:18944                         // 000000005B64: D81A4A00 00001E32
	ds_write_b32 v50, v31 offset:19200                         // 000000005B6C: D81A4B00 00001F32
	s_mov_b32 s60, -1                                          // 000000005B74: BEBC00C1
	s_mov_b32 s61, -1                                          // 000000005B78: BEBD00C1
	s_mov_b64 exec, s[60:61]                                   // 000000005B7C: BEFE013C
	s_waitcnt lgkmcnt(0)                                       // 000000005B80: BF8CC07F
	s_barrier                                                  // 000000005B84: BF8A0000
	v_lshlrev_b32_e32 v50, 2, v0                               // 000000005B88: 24640082
	ds_read_b32 v160, v50 offset:18944                         // 000000005B8C: D86C4A00 A0000032
	ds_read_b32 v161, v50 offset:19200                         // 000000005B94: D86C4B00 A1000032
	s_waitcnt lgkmcnt(0)                                       // 000000005B9C: BF8CC07F
	v_mov_b32_e32 v50, v160                                    // 000000005BA0: 7E6403A0
	s_nop 1                                                    // 000000005BA4: BF800001
	v_permlane32_swap_b32_e32 v50, v160                        // 000000005BA8: 7E64B5A0
	v_max_f32_e32 v160, v50, v160                              // 000000005BAC: 17414132
	v_mov_b32_e32 v50, v160                                    // 000000005BB0: 7E6403A0
	s_nop 1                                                    // 000000005BB4: BF800001
	v_permlane16_swap_b32_e32 v50, v160                        // 000000005BB8: 7E64B3A0
	v_max_f32_e32 v160, v50, v160                              // 000000005BBC: 17414132
	v_mov_b32_e32 v50, v161                                    // 000000005BC0: 7E6403A1
	s_nop 1                                                    // 000000005BC4: BF800001
	v_permlane32_swap_b32_e32 v50, v161                        // 000000005BC8: 7E64B5A1
	v_max_f32_e32 v161, v50, v161                              // 000000005BCC: 17434332
	v_mov_b32_e32 v50, v161                                    // 000000005BD0: 7E6403A1
	s_nop 1                                                    // 000000005BD4: BF800001
	v_permlane16_swap_b32_e32 v50, v161                        // 000000005BD8: 7E64B3A1
	v_max_f32_e32 v161, v50, v161                              // 000000005BDC: 17434332
	v_max_f32_e32 v30, v160, v30                               // 000000005BE0: 163C3DA0
	v_max_f32_e32 v31, v161, v31                               // 000000005BE4: 163E3FA1
	v_rcp_f32_e32 v30, v30                                     // 000000005BE8: 7E3C451E
	v_rcp_f32_e32 v31, v31                                     // 000000005BEC: 7E3E451F
	v_mov_b32_e32 v50, 0x43e00000                              // 000000005BF0: 7E6402FF 43E00000
	v_mul_f32_e32 v30, v50, v30                                // 000000005BF8: 0A3C3D32
	v_mul_f32_e32 v31, v50, v31                                // 000000005BFC: 0A3E3F32
	v_mul_f32_e32 v144, v30, v144                              // 000000005C00: 0B21211E
	v_mul_f32_e32 v145, v30, v145                              // 000000005C04: 0B23231E
	v_mul_f32_e32 v146, v30, v146                              // 000000005C08: 0B25251E
	v_mul_f32_e32 v147, v30, v147                              // 000000005C0C: 0B27271E
	v_cvt_pk_fp8_f32 v132, v144, v145                          // 000000005C10: D2A20084 00032390
	v_cvt_pk_fp8_f32 v132, v146, v147 op_sel:[0,0,1]           // 000000005C18: D2A24084 00032792
	v_mul_f32_e32 v148, v31, v148                              // 000000005C20: 0B29291F
	v_mul_f32_e32 v149, v31, v149                              // 000000005C24: 0B2B2B1F
	v_mul_f32_e32 v150, v31, v150                              // 000000005C28: 0B2D2D1F
	v_mul_f32_e32 v151, v31, v151                              // 000000005C2C: 0B2F2F1F
	v_cvt_pk_fp8_f32 v133, v148, v149                          // 000000005C30: D2A20085 00032B94
	v_cvt_pk_fp8_f32 v133, v150, v151 op_sel:[0,0,1]           // 000000005C38: D2A24085 00032F96
	v_mul_f32_e32 v152, v30, v152                              // 000000005C40: 0B31311E
	v_mul_f32_e32 v153, v30, v153                              // 000000005C44: 0B33331E
	v_mul_f32_e32 v154, v30, v154                              // 000000005C48: 0B35351E
	v_mul_f32_e32 v155, v30, v155                              // 000000005C4C: 0B37371E
	v_cvt_pk_fp8_f32 v134, v152, v153                          // 000000005C50: D2A20086 00033398
	v_cvt_pk_fp8_f32 v134, v154, v155 op_sel:[0,0,1]           // 000000005C58: D2A24086 0003379A
	v_mul_f32_e32 v156, v31, v156                              // 000000005C60: 0B39391F
	v_mul_f32_e32 v157, v31, v157                              // 000000005C64: 0B3B3B1F
	v_mul_f32_e32 v158, v31, v158                              // 000000005C68: 0B3D3D1F
	v_mul_f32_e32 v159, v31, v159                              // 000000005C6C: 0B3F3F1F
	v_cvt_pk_fp8_f32 v135, v156, v157                          // 000000005C70: D2A20087 00033B9C
	v_cvt_pk_fp8_f32 v135, v158, v159 op_sel:[0,0,1]           // 000000005C78: D2A24087 00033F9E
	v_rcp_f32_e32 v34, v30                                     // 000000005C80: 7E44451E
	v_rcp_f32_e32 v35, v31                                     // 000000005C84: 7E46451F
	v_lshrrev_b32_e32 v50, 5, v0                               // 000000005C88: 20640085
	v_lshlrev_b32_e32 v51, 6, v50                              // 000000005C8C: 24666486
	v_and_b32_e32 v50, 31, v0                                  // 000000005C90: 2664009F
	v_lshrrev_b32_e32 v52, 4, v50                              // 000000005C94: 20686484
	v_add_u32_e32 v51, v52, v51                                // 000000005C98: 68666734
	v_and_b32_e32 v50, 15, v0                                  // 000000005C9C: 2664008F
	v_lshlrev_b32_e32 v50, 1, v50                              // 000000005CA0: 24646481
	v_add_u32_e32 v51, v50, v51                                // 000000005CA4: 68666732
	v_lshlrev_b32_e32 v50, 2, v51                              // 000000005CA8: 24646682
	s_mov_b32 s60, 0                                           // 000000005CAC: BEBC0080
	s_lshr_b32 s61, s7, 1                                      // 000000005CB0: 8F3D8107
	s_mul_i32 s61, s61, 0x200                                  // 000000005CB4: 923DFF3D 00000200
	s_add_u32 s60, s61, s60                                    // 000000005CBC: 803C3C3D
	s_and_b32 s61, s7, 1                                       // 000000005CC0: 863D8107
	s_mul_i32 s61, s61, 0x80                                   // 000000005CC4: 923DFF3D 00000080
	s_add_u32 s60, s61, s60                                    // 000000005CCC: 803C3C3D
	v_add_u32_e64 v50, v50, s60                                // 000000005CD0: D1340032 00007932
	ds_write_b32 v50, v128 offset:20992                        // 000000005CD8: D81A5200 00008032
	ds_write_b32 v50, v129 offset:25088                        // 000000005CE0: D81A6200 00008132
	ds_write_b32 v50, v130 offset:22016                        // 000000005CE8: D81A5600 00008232
	ds_write_b32 v50, v131 offset:26112                        // 000000005CF0: D81A6600 00008332
	ds_write_b32 v50, v132 offset:23040                        // 000000005CF8: D81A5A00 00008432
	ds_write_b32 v50, v133 offset:27136                        // 000000005D00: D81A6A00 00008532
	ds_write_b32 v50, v134 offset:24064                        // 000000005D08: D81A5E00 00008632
	ds_write_b32 v50, v135 offset:28160                        // 000000005D10: D81A6E00 00008732
	s_waitcnt lgkmcnt(0)                                       // 000000005D18: BF8CC07F
	s_barrier                                                  // 000000005D1C: BF8A0000
	v_and_b32_e32 v50, 31, v0                                  // 000000005D20: 2664009F
	v_lshrrev_b32_e32 v50, 4, v50                              // 000000005D24: 20646484
	v_lshlrev_b32_e32 v51, 5, v50                              // 000000005D28: 24666485
	v_lshrrev_b32_e32 v50, 5, v0                               // 000000005D2C: 20640085
	v_lshlrev_b32_e32 v50, 7, v50                              // 000000005D30: 24646487
	v_add_u32_e32 v51, v50, v51                                // 000000005D34: 68666732
	v_and_b32_e32 v50, 15, v0                                  // 000000005D38: 2664008F
	v_lshlrev_b32_e32 v50, 1, v50                              // 000000005D3C: 24646481
	v_add_u32_e32 v51, v50, v51                                // 000000005D40: 68666732
	v_lshlrev_b32_e32 v50, 2, v51                              // 000000005D44: 24646682
	ds_read_b64 v[128:129], v50 offset:20992                   // 000000005D48: D8EC5200 80000032
	ds_read_b64 v[130:131], v50 offset:21248                   // 000000005D50: D8EC5300 82000032
	ds_read_b64 v[132:133], v50 offset:22016                   // 000000005D58: D8EC5600 84000032
	ds_read_b64 v[134:135], v50 offset:22272                   // 000000005D60: D8EC5700 86000032
	ds_read_b64 v[136:137], v50 offset:23040                   // 000000005D68: D8EC5A00 88000032
	ds_read_b64 v[138:139], v50 offset:23296                   // 000000005D70: D8EC5B00 8A000032
	ds_read_b64 v[140:141], v50 offset:24064                   // 000000005D78: D8EC5E00 8C000032
	ds_read_b64 v[142:143], v50 offset:24320                   // 000000005D80: D8EC5F00 8E000032
	ds_read_b64 v[144:145], v50 offset:25088                   // 000000005D88: D8EC6200 90000032
	ds_read_b64 v[146:147], v50 offset:25344                   // 000000005D90: D8EC6300 92000032
	ds_read_b64 v[148:149], v50 offset:26112                   // 000000005D98: D8EC6600 94000032
	ds_read_b64 v[150:151], v50 offset:26368                   // 000000005DA0: D8EC6700 96000032
	ds_read_b64 v[152:153], v50 offset:27136                   // 000000005DA8: D8EC6A00 98000032
	ds_read_b64 v[154:155], v50 offset:27392                   // 000000005DB0: D8EC6B00 9A000032
	ds_read_b64 v[156:157], v50 offset:28160                   // 000000005DB8: D8EC6E00 9C000032
	ds_read_b64 v[158:159], v50 offset:28416                   // 000000005DC0: D8EC6F00 9E000032
	s_add_u32 s12, s56, s12                                    // 000000005DC8: 800C0C38
	s_addc_u32 s13, 0, s13                                     // 000000005DCC: 820D0D80
	s_add_u32 s16, s79, s16                                    // 000000005DD0: 8010104F
	s_addc_u32 s17, 0, s17                                     // 000000005DD4: 82111180
	s_waitcnt lgkmcnt(0)                                       // 000000005DD8: BF8CC07F
	s_barrier                                                  // 000000005DDC: BF8A0000
	v_mov_b32_e32 v192, 0                                      // 000000005DE0: 7F800280
	v_mov_b32_e32 v224, 0                                      // 000000005DE4: 7FC00280
	v_mov_b32_e32 v193, 0                                      // 000000005DE8: 7F820280
	v_mov_b32_e32 v225, 0                                      // 000000005DEC: 7FC20280
	v_mov_b32_e32 v194, 0                                      // 000000005DF0: 7F840280
	v_mov_b32_e32 v226, 0                                      // 000000005DF4: 7FC40280
	v_mov_b32_e32 v195, 0                                      // 000000005DF8: 7F860280
	v_mov_b32_e32 v227, 0                                      // 000000005DFC: 7FC60280
	v_mov_b32_e32 v196, 0                                      // 000000005E00: 7F880280
	v_mov_b32_e32 v228, 0                                      // 000000005E04: 7FC80280
	v_mov_b32_e32 v197, 0                                      // 000000005E08: 7F8A0280
	v_mov_b32_e32 v229, 0                                      // 000000005E0C: 7FCA0280
	v_mov_b32_e32 v198, 0                                      // 000000005E10: 7F8C0280
	v_mov_b32_e32 v230, 0                                      // 000000005E14: 7FCC0280
	v_mov_b32_e32 v199, 0                                      // 000000005E18: 7F8E0280
	v_mov_b32_e32 v231, 0                                      // 000000005E1C: 7FCE0280
	v_mov_b32_e32 v200, 0                                      // 000000005E20: 7F900280
	v_mov_b32_e32 v232, 0                                      // 000000005E24: 7FD00280
	v_mov_b32_e32 v201, 0                                      // 000000005E28: 7F920280
	v_mov_b32_e32 v233, 0                                      // 000000005E2C: 7FD20280
	v_mov_b32_e32 v202, 0                                      // 000000005E30: 7F940280
	v_mov_b32_e32 v234, 0                                      // 000000005E34: 7FD40280
	v_mov_b32_e32 v203, 0                                      // 000000005E38: 7F960280
	v_mov_b32_e32 v235, 0                                      // 000000005E3C: 7FD60280
	v_mov_b32_e32 v204, 0                                      // 000000005E40: 7F980280
	v_mov_b32_e32 v236, 0                                      // 000000005E44: 7FD80280
	v_mov_b32_e32 v205, 0                                      // 000000005E48: 7F9A0280
	v_mov_b32_e32 v237, 0                                      // 000000005E4C: 7FDA0280
	v_mov_b32_e32 v206, 0                                      // 000000005E50: 7F9C0280
	v_mov_b32_e32 v238, 0                                      // 000000005E54: 7FDC0280
	v_mov_b32_e32 v207, 0                                      // 000000005E58: 7F9E0280
	v_mov_b32_e32 v239, 0                                      // 000000005E5C: 7FDE0280
	ds_write_b64 v4, v[192:193] offset:20992                   // 000000005E60: D89A5200 0000C004
	ds_write_b64 v4, v[194:195] offset:29696                   // 000000005E68: D89A7400 0000C204
	ds_write_b64 v4, v[196:197] offset:23168                   // 000000005E70: D89A5A80 0000C404
	ds_write_b64 v4, v[198:199] offset:31872                   // 000000005E78: D89A7C80 0000C604
	ds_write_b64 v4, v[200:201] offset:25344                   // 000000005E80: D89A6300 0000C804
	ds_write_b64 v4, v[202:203] offset:34048                   // 000000005E88: D89A8500 0000CA04
	ds_write_b64 v4, v[204:205] offset:27520                   // 000000005E90: D89A6B80 0000CC04
	ds_write_b64 v4, v[206:207] offset:36224                   // 000000005E98: D89A8D80 0000CE04
	s_mov_b32 s80, 0                                           // 000000005EA0: BED00080
	s_waitcnt vmcnt(0) expcnt(0) lgkmcnt(0)                    // 000000005EA4: BF8C0000

0000000000005ea8 <label_0C2A>:
	s_waitcnt vmcnt(12) lgkmcnt(0)                             // 000000005EA8: BF8C007C
	s_barrier                                                  // 000000005EAC: BF8A0000
	v_mfma_f32_16x16x128_f8f6f4 v[192:195], a[0:7], v[128:135], 0// 000000005EB0: D3AD00C0 0A030100
	ds_read_b32 v64, v5 offset:20992                           // 000000005EB8: D86C5200 40000005
	ds_read_b32 v65, v5 offset:25344                           // 000000005EC0: D86C6300 41000005
	ds_read_b32 v66, v5 offset:21000                           // 000000005EC8: D86C5208 42000005
	ds_read_b32 v67, v5 offset:25352                           // 000000005ED0: D86C6308 43000005
	v_mfma_f32_16x16x128_f8f6f4 v[196:199], a[0:7], v[144:151], 0// 000000005ED8: D3AD00C4 0A032100
	buffer_load_dwordx4 a[64:67], v42, s[12:15], 0 offen       // 000000005EE0: E05C1000 8083402A
	buffer_load_dwordx4 a[68:71], v42, s[12:15], 0 offen offset:1024// 000000005EE8: E05C1400 8083442A
	v_mfma_f32_16x16x128_f8f6f4 v[200:203], a[8:15], v[128:135], 0// 000000005EF0: D3AD00C8 0A030108
	ds_read_b32 v68, v5 offset:21024                           // 000000005EF8: D86C5220 44000005
	ds_read_b32 v69, v5 offset:25376                           // 000000005F00: D86C6320 45000005
	ds_read_b32 v70, v5 offset:21032                           // 000000005F08: D86C5228 46000005
	ds_read_b32 v71, v5 offset:25384                           // 000000005F10: D86C6328 47000005
	v_mfma_f32_16x16x128_f8f6f4 v[204:207], a[8:15], v[144:151], 0// 000000005F18: D3AD00CC 0A032108
	buffer_load_dwordx4 a[72:75], v43, s[12:15], 0 offen       // 000000005F20: E05C1000 8083482B
	buffer_load_dwordx4 a[76:79], v43, s[12:15], 0 offen offset:1024// 000000005F28: E05C1400 80834C2B
	buffer_load_dword v24, v6, s[16:19], 0 offen               // 000000005F30: E0501000 80041806
	s_waitcnt vmcnt(13)                                        // 000000005F38: BF8C0F7D
	v_mfma_f32_16x16x128_f8f6f4 v[208:211], a[16:23], v[128:135], 0// 000000005F3C: D3AD00D0 0A030110
	ds_read_b32 v72, v5 offset:29696                           // 000000005F44: D86C7400 48000005
	ds_read_b32 v73, v5 offset:34048                           // 000000005F4C: D86C8500 49000005
	ds_read_b32 v74, v5 offset:29704                           // 000000005F54: D86C7408 4A000005
	ds_read_b32 v75, v5 offset:34056                           // 000000005F5C: D86C8508 4B000005
	v_mfma_f32_16x16x128_f8f6f4 v[212:215], a[16:23], v[144:151], 0// 000000005F64: D3AD00D4 0A032110
	buffer_load_dwordx4 a[80:83], v44, s[12:15], 0 offen       // 000000005F6C: E05C1000 8083502C
	buffer_load_dwordx4 a[84:87], v44, s[12:15], 0 offen offset:1024// 000000005F74: E05C1400 8083542C
	v_mfma_f32_16x16x128_f8f6f4 v[216:219], a[24:31], v[128:135], 0// 000000005F7C: D3AD00D8 0A030118
	ds_read_b32 v76, v5 offset:29728                           // 000000005F84: D86C7420 4C000005
	ds_read_b32 v77, v5 offset:34080                           // 000000005F8C: D86C8520 4D000005
	ds_read_b32 v78, v5 offset:29736                           // 000000005F94: D86C7428 4E000005
	ds_read_b32 v79, v5 offset:34088                           // 000000005F9C: D86C8528 4F000005
	v_mfma_f32_16x16x128_f8f6f4 v[220:223], a[24:31], v[144:151], 0// 000000005FA4: D3AD00DC 0A032118
	buffer_load_dwordx4 a[88:91], v45, s[12:15], 0 offen       // 000000005FAC: E05C1000 8083582D
	buffer_load_dwordx4 a[92:95], v45, s[12:15], 0 offen offset:1024// 000000005FB4: E05C1400 80835C2D
	s_add_u32 s12, s78, s12                                    // 000000005FBC: 800C0C4E
	s_addc_u32 s13, 0, s13                                     // 000000005FC0: 820D0D80
	v_mul_f32_dpp v50, v23, v32 row_newbcast:0 row_mask:0xf bank_mask:0xf// 000000005FC4: 0A6440FA FF015017
	v_mov_b32_e32 v51, v50                                     // 000000005FCC: 7E660332
	v_pk_mul_f32 v[192:193], v[50:51], v[192:193]              // 000000005FD0: D3B140C0 18038132
	v_pk_mul_f32 v[194:195], v[50:51], v[194:195]              // 000000005FD8: D3B140C2 18038532
	v_pk_mul_f32 v[200:201], v[50:51], v[200:201]              // 000000005FE0: D3B140C8 18039132
	v_pk_mul_f32 v[202:203], v[50:51], v[202:203]              // 000000005FE8: D3B140CA 18039532
	v_mul_f32_dpp v50, v23, v32 row_newbcast:1 row_mask:0xf bank_mask:0xf// 000000005FF0: 0A6440FA FF015117
	v_mov_b32_e32 v51, v50                                     // 000000005FF8: 7E660332
	v_pk_mul_f32 v[208:209], v[50:51], v[208:209]              // 000000005FFC: D3B140D0 1803A132
	v_pk_mul_f32 v[210:211], v[50:51], v[210:211]              // 000000006004: D3B140D2 1803A532
	v_pk_mul_f32 v[216:217], v[50:51], v[216:217]              // 00000000600C: D3B140D8 1803B132
	v_pk_mul_f32 v[218:219], v[50:51], v[218:219]              // 000000006014: D3B140DA 1803B532
	v_mul_f32_dpp v50, v23, v33 row_newbcast:0 row_mask:0xf bank_mask:0xf// 00000000601C: 0A6442FA FF015017
	v_mov_b32_e32 v51, v50                                     // 000000006024: 7E660332
	v_pk_mul_f32 v[196:197], v[50:51], v[196:197]              // 000000006028: D3B140C4 18038932
	v_pk_mul_f32 v[198:199], v[50:51], v[198:199]              // 000000006030: D3B140C6 18038D32
	v_pk_mul_f32 v[204:205], v[50:51], v[204:205]              // 000000006038: D3B140CC 18039932
	v_pk_mul_f32 v[206:207], v[50:51], v[206:207]              // 000000006040: D3B140CE 18039D32
	v_mul_f32_dpp v50, v23, v33 row_newbcast:1 row_mask:0xf bank_mask:0xf// 000000006048: 0A6442FA FF015117
	v_mov_b32_e32 v51, v50                                     // 000000006050: 7E660332
	v_pk_mul_f32 v[212:213], v[50:51], v[212:213]              // 000000006054: D3B140D4 1803A932
	v_pk_mul_f32 v[214:215], v[50:51], v[214:215]              // 00000000605C: D3B140D6 1803AD32
	v_pk_mul_f32 v[220:221], v[50:51], v[220:221]              // 000000006064: D3B140DC 1803B932
	v_pk_mul_f32 v[222:223], v[50:51], v[222:223]              // 00000000606C: D3B140DE 1803BD32
	s_waitcnt vmcnt(13)                                        // 000000006074: BF8C0F7D
	v_mfma_f32_16x16x128_f8f6f4 v[160:163], a[32:39], v[136:143], 0// 000000006078: D3AD00A0 0A031120
	ds_write_b64 v4, v[224:225] offset:38400                   // 000000006080: D89A9600 0000E004
	ds_write_b64 v4, v[226:227] offset:47104                   // 000000006088: D89AB800 0000E204
	v_mfma_f32_16x16x128_f8f6f4 v[164:167], a[32:39], v[152:159], 0// 000000006090: D3AD00A4 0A033120
	buffer_load_dwordx4 a[96:99], v42, s[12:15], 0 offen       // 000000006098: E05C1000 8083602A
	buffer_load_dwordx4 a[100:103], v42, s[12:15], 0 offen offset:1024// 0000000060A0: E05C1400 8083642A
	v_mfma_f32_16x16x128_f8f6f4 v[168:171], a[40:47], v[136:143], 0// 0000000060A8: D3AD00A8 0A031128
	ds_write_b64 v4, v[228:229] offset:40576                   // 0000000060B0: D89A9E80 0000E404
	ds_write_b64 v4, v[230:231] offset:49280                   // 0000000060B8: D89AC080 0000E604
	v_mfma_f32_16x16x128_f8f6f4 v[172:175], a[40:47], v[152:159], 0// 0000000060C0: D3AD00AC 0A033128
	buffer_load_dwordx4 a[104:107], v43, s[12:15], 0 offen     // 0000000060C8: E05C1000 8083682B
	buffer_load_dwordx4 a[108:111], v43, s[12:15], 0 offen offset:1024// 0000000060D0: E05C1400 80836C2B
	s_waitcnt vmcnt(13)                                        // 0000000060D8: BF8C0F7D
	v_mfma_f32_16x16x128_f8f6f4 v[176:179], a[48:55], v[136:143], 0// 0000000060DC: D3AD00B0 0A031130
	ds_write_b64 v4, v[232:233] offset:42752                   // 0000000060E4: D89AA700 0000E804
	ds_write_b64 v4, v[234:235] offset:51456                   // 0000000060EC: D89AC900 0000EA04
	v_mfma_f32_16x16x128_f8f6f4 v[180:183], a[48:55], v[152:159], 0// 0000000060F4: D3AD00B4 0A033130
	buffer_load_dwordx4 a[112:115], v44, s[12:15], 0 offen     // 0000000060FC: E05C1000 8083702C
	buffer_load_dwordx4 a[116:119], v44, s[12:15], 0 offen offset:1024// 000000006104: E05C1400 8083742C
	v_mfma_f32_16x16x128_f8f6f4 v[184:187], a[56:63], v[136:143], 0// 00000000610C: D3AD00B8 0A031138
	ds_write_b64 v4, v[236:237] offset:44928                   // 000000006114: D89AAF80 0000EC04
	ds_write_b64 v4, v[238:239] offset:53632                   // 00000000611C: D89AD180 0000EE04
	v_mfma_f32_16x16x128_f8f6f4 v[188:191], a[56:63], v[152:159], 0// 000000006124: D3AD00BC 0A033138
	buffer_load_dwordx4 a[120:123], v45, s[12:15], 0 offen     // 00000000612C: E05C1000 8083782D
	buffer_load_dwordx4 a[124:127], v45, s[12:15], 0 offen offset:1024// 000000006134: E05C1400 80837C2D
	v_mul_f32_dpp v50, v23, v34 row_newbcast:2 row_mask:0xf bank_mask:0xf// 00000000613C: 0A6444FA FF015217
	v_mov_b32_e32 v51, v50                                     // 000000006144: 7E660332
	v_pk_fma_f32 v[192:193], v[160:161], v[50:51], v[192:193]  // 000000006148: D3B040C0 1F0265A0
	v_pk_fma_f32 v[194:195], v[162:163], v[50:51], v[194:195]  // 000000006150: D3B040C2 1F0A65A2
	v_pk_fma_f32 v[200:201], v[168:169], v[50:51], v[200:201]  // 000000006158: D3B040C8 1F2265A8
	v_pk_fma_f32 v[202:203], v[170:171], v[50:51], v[202:203]  // 000000006160: D3B040CA 1F2A65AA
	v_mul_f32_dpp v50, v23, v34 row_newbcast:3 row_mask:0xf bank_mask:0xf// 000000006168: 0A6444FA FF015317
	v_mov_b32_e32 v51, v50                                     // 000000006170: 7E660332
	v_pk_fma_f32 v[208:209], v[176:177], v[50:51], v[208:209]  // 000000006174: D3B040D0 1F4265B0
	v_pk_fma_f32 v[210:211], v[178:179], v[50:51], v[210:211]  // 00000000617C: D3B040D2 1F4A65B2
	v_pk_fma_f32 v[216:217], v[184:185], v[50:51], v[216:217]  // 000000006184: D3B040D8 1F6265B8
	v_pk_fma_f32 v[218:219], v[186:187], v[50:51], v[218:219]  // 00000000618C: D3B040DA 1F6A65BA
	v_mul_f32_dpp v50, v23, v35 row_newbcast:2 row_mask:0xf bank_mask:0xf// 000000006194: 0A6446FA FF015217
	v_mov_b32_e32 v51, v50                                     // 00000000619C: 7E660332
	v_pk_fma_f32 v[196:197], v[164:165], v[50:51], v[196:197]  // 0000000061A0: D3B040C4 1F1265A4
	v_pk_fma_f32 v[198:199], v[166:167], v[50:51], v[198:199]  // 0000000061A8: D3B040C6 1F1A65A6
	v_pk_fma_f32 v[204:205], v[172:173], v[50:51], v[204:205]  // 0000000061B0: D3B040CC 1F3265AC
	v_pk_fma_f32 v[206:207], v[174:175], v[50:51], v[206:207]  // 0000000061B8: D3B040CE 1F3A65AE
	v_mul_f32_dpp v50, v23, v35 row_newbcast:3 row_mask:0xf bank_mask:0xf// 0000000061C0: 0A6446FA FF015317
	v_mov_b32_e32 v51, v50                                     // 0000000061C8: 7E660332
	v_pk_fma_f32 v[212:213], v[180:181], v[50:51], v[212:213]  // 0000000061CC: D3B040D4 1F5265B4
	v_pk_fma_f32 v[214:215], v[182:183], v[50:51], v[214:215]  // 0000000061D4: D3B040D6 1F5A65B6
	v_pk_fma_f32 v[220:221], v[188:189], v[50:51], v[220:221]  // 0000000061DC: D3B040DC 1F7265BC
	v_pk_fma_f32 v[222:223], v[190:191], v[50:51], v[222:223]  // 0000000061E4: D3B040DE 1F7A65BE
	s_add_u32 s60, 0x200, s80                                  // 0000000061EC: 803C50FF 00000200
	s_cmp_lt_u32 s60, s81                                      // 0000000061F4: BF0A513C
	s_cselect_b32 s56, s56, 0                                  // 0000000061F8: 85388038
	s_cselect_b32 s78, s78, 0                                  // 0000000061FC: 854E804E
	s_cselect_b32 s79, s79, 0                                  // 000000006200: 854F804F
	s_add_u32 s12, s56, s12                                    // 000000006204: 800C0C38
	s_addc_u32 s13, 0, s13                                     // 000000006208: 820D0D80
	s_add_u32 s16, s79, s16                                    // 00000000620C: 8010104F
	s_addc_u32 s17, 0, s17                                     // 000000006210: 82111180
	v_mov_b32_e32 v50, v25                                     // 000000006214: 7E640319
	v_mov_b32_e32 v51, v25                                     // 000000006218: 7E660319
	v_pk_mul_f32 v[192:193], v[50:51], v[192:193]              // 00000000621C: D3B140C0 18038132
	v_pk_mul_f32 v[194:195], v[50:51], v[194:195]              // 000000006224: D3B140C2 18038532
	v_pk_mul_f32 v[200:201], v[50:51], v[200:201]              // 00000000622C: D3B140C8 18039132
	v_pk_mul_f32 v[202:203], v[50:51], v[202:203]              // 000000006234: D3B140CA 18039532
	v_pk_mul_f32 v[208:209], v[50:51], v[208:209]              // 00000000623C: D3B140D0 1803A132
	v_pk_mul_f32 v[210:211], v[50:51], v[210:211]              // 000000006244: D3B140D2 1803A532
	v_pk_mul_f32 v[216:217], v[50:51], v[216:217]              // 00000000624C: D3B140D8 1803B132
	v_pk_mul_f32 v[218:219], v[50:51], v[218:219]              // 000000006254: D3B140DA 1803B532
	v_mov_b32_e32 v50, v26                                     // 00000000625C: 7E64031A
	v_mov_b32_e32 v51, v26                                     // 000000006260: 7E66031A
	v_pk_mul_f32 v[196:197], v[50:51], v[196:197]              // 000000006264: D3B140C4 18038932
	v_pk_mul_f32 v[198:199], v[50:51], v[198:199]              // 00000000626C: D3B140C6 18038D32
	v_pk_mul_f32 v[204:205], v[50:51], v[204:205]              // 000000006274: D3B140CC 18039932
	v_pk_mul_f32 v[206:207], v[50:51], v[206:207]              // 00000000627C: D3B140CE 18039D32
	v_pk_mul_f32 v[212:213], v[50:51], v[212:213]              // 000000006284: D3B140D4 1803A932
	v_pk_mul_f32 v[214:215], v[50:51], v[214:215]              // 00000000628C: D3B140D6 1803AD32
	v_pk_mul_f32 v[220:221], v[50:51], v[220:221]              // 000000006294: D3B140DC 1803B932
	v_pk_mul_f32 v[222:223], v[50:51], v[222:223]              // 00000000629C: D3B140DE 1803BD32
	v_cvt_pk_bf16_f32 v192, v192, v193                         // 0000000062A4: D26800C0 000383C0
	v_cvt_pk_bf16_f32 v193, v194, v195                         // 0000000062AC: D26800C1 000387C2
	v_cvt_pk_bf16_f32 v194, v196, v197                         // 0000000062B4: D26800C2 00038BC4
	v_cvt_pk_bf16_f32 v195, v198, v199                         // 0000000062BC: D26800C3 00038FC6
	v_cvt_pk_bf16_f32 v196, v200, v201                         // 0000000062C4: D26800C4 000393C8
	v_cvt_pk_bf16_f32 v197, v202, v203                         // 0000000062CC: D26800C5 000397CA
	v_cvt_pk_bf16_f32 v198, v204, v205                         // 0000000062D4: D26800C6 00039BCC
	v_cvt_pk_bf16_f32 v199, v206, v207                         // 0000000062DC: D26800C7 00039FCE
	v_cvt_pk_bf16_f32 v200, v208, v209                         // 0000000062E4: D26800C8 0003A3D0
	v_cvt_pk_bf16_f32 v201, v210, v211                         // 0000000062EC: D26800C9 0003A7D2
	v_cvt_pk_bf16_f32 v202, v212, v213                         // 0000000062F4: D26800CA 0003ABD4
	v_cvt_pk_bf16_f32 v203, v214, v215                         // 0000000062FC: D26800CB 0003AFD6
	v_cvt_pk_bf16_f32 v204, v216, v217                         // 000000006304: D26800CC 0003B3D8
	v_cvt_pk_bf16_f32 v205, v218, v219                         // 00000000630C: D26800CD 0003B7DA
	v_cvt_pk_bf16_f32 v206, v220, v221                         // 000000006314: D26800CE 0003BBDC
	v_cvt_pk_bf16_f32 v207, v222, v223                         // 00000000631C: D26800CF 0003BFDE
	s_cmp_ge_u32 s80, 0x200                                    // 000000006324: BF09FF50 00000200
	s_cselect_b32 s59, 0x200, s59                              // 00000000632C: 853B3BFF 00000200
	s_setvskip s20, 0                                          // 000000006334: BF108014
	global_atomic_pk_add_bf16 v80, v64, s[8:9]                 // 000000006338: DD488000 00084050
	s_setvskip 0, 0                                            // 000000006340: BF108080
	s_setvskip s20, 0                                          // 000000006344: BF108014
	global_atomic_pk_add_bf16 v80, v65, s[8:9] offset:256      // 000000006348: DD488100 00084150
	s_setvskip 0, 0                                            // 000000006350: BF108080
	s_setvskip s20, 1                                          // 000000006354: BF108114
	global_atomic_pk_add_bf16 v82, v66, s[8:9]                 // 000000006358: DD488000 00084252
	s_setvskip 0, 0                                            // 000000006360: BF108080
	s_setvskip s20, 1                                          // 000000006364: BF108114
	global_atomic_pk_add_bf16 v82, v67, s[8:9] offset:256      // 000000006368: DD488100 00084352
	s_setvskip 0, 0                                            // 000000006370: BF108080
	s_setvskip s20, 2                                          // 000000006374: BF108214
	global_atomic_pk_add_bf16 v84, v68, s[8:9]                 // 000000006378: DD488000 00084454
	s_setvskip 0, 0                                            // 000000006380: BF108080
	s_setvskip s20, 2                                          // 000000006384: BF108214
	global_atomic_pk_add_bf16 v84, v69, s[8:9] offset:256      // 000000006388: DD488100 00084554
	s_setvskip 0, 0                                            // 000000006390: BF108080
	s_setvskip s20, 3                                          // 000000006394: BF108314
	global_atomic_pk_add_bf16 v86, v70, s[8:9]                 // 000000006398: DD488000 00084656
	s_setvskip 0, 0                                            // 0000000063A0: BF108080
	s_setvskip s20, 3                                          // 0000000063A4: BF108314
	global_atomic_pk_add_bf16 v86, v71, s[8:9] offset:256      // 0000000063A8: DD488100 00084756
	s_setvskip 0, 0                                            // 0000000063B0: BF108080
	s_setvskip s20, 4                                          // 0000000063B4: BF108414
	global_atomic_pk_add_bf16 v88, v72, s[8:9]                 // 0000000063B8: DD488000 00084858
	s_setvskip 0, 0                                            // 0000000063C0: BF108080
	s_setvskip s20, 4                                          // 0000000063C4: BF108414
	global_atomic_pk_add_bf16 v88, v73, s[8:9] offset:256      // 0000000063C8: DD488100 00084958
	s_setvskip 0, 0                                            // 0000000063D0: BF108080
	s_setvskip s20, 5                                          // 0000000063D4: BF108514
	global_atomic_pk_add_bf16 v90, v74, s[8:9]                 // 0000000063D8: DD488000 00084A5A
	s_setvskip 0, 0                                            // 0000000063E0: BF108080
	s_setvskip s20, 5                                          // 0000000063E4: BF108514
	global_atomic_pk_add_bf16 v90, v75, s[8:9] offset:256      // 0000000063E8: DD488100 00084B5A
	s_setvskip 0, 0                                            // 0000000063F0: BF108080
	s_setvskip s20, 6                                          // 0000000063F4: BF108614
	global_atomic_pk_add_bf16 v92, v76, s[8:9]                 // 0000000063F8: DD488000 00084C5C
	s_setvskip 0, 0                                            // 000000006400: BF108080
	s_setvskip s20, 6                                          // 000000006404: BF108614
	global_atomic_pk_add_bf16 v92, v77, s[8:9] offset:256      // 000000006408: DD488100 00084D5C
	s_setvskip 0, 0                                            // 000000006410: BF108080
	s_setvskip s20, 7                                          // 000000006414: BF108714
	global_atomic_pk_add_bf16 v94, v78, s[8:9]                 // 000000006418: DD488000 00084E5E
	s_setvskip 0, 0                                            // 000000006420: BF108080
	s_setvskip s20, 7                                          // 000000006424: BF108714
	global_atomic_pk_add_bf16 v94, v79, s[8:9] offset:256      // 000000006428: DD488100 00084F5E
	s_setvskip 0, 0                                            // 000000006430: BF108080
	s_add_u32 s8, s59, s8                                      // 000000006434: 8008083B
	s_addc_u32 s9, 0, s9                                       // 000000006438: 82090980
	s_addk_i32 s80, 0x100                                      // 00000000643C: B7500100
	s_cmp_lt_i32 s80, s81                                      // 000000006440: BF045150
	s_cbranch_scc0 label_0EFB                                  // 000000006444: BF840169
	s_waitcnt vmcnt(12) lgkmcnt(0)                             // 000000006448: BF8C007C
	s_barrier                                                  // 00000000644C: BF8A0000
	v_mfma_f32_16x16x128_f8f6f4 v[224:227], a[64:71], v[128:135], 0// 000000006450: D3AD00E0 0A030140
	ds_read_b32 v64, v5 offset:38400                           // 000000006458: D86C9600 40000005
	ds_read_b32 v65, v5 offset:42752                           // 000000006460: D86CA700 41000005
	ds_read_b32 v66, v5 offset:38408                           // 000000006468: D86C9608 42000005
	ds_read_b32 v67, v5 offset:42760                           // 000000006470: D86CA708 43000005
	v_mfma_f32_16x16x128_f8f6f4 v[228:231], a[64:71], v[144:151], 0// 000000006478: D3AD00E4 0A032140
	buffer_load_dwordx4 a[0:3], v42, s[12:15], 0 offen         // 000000006480: E05C1000 8083002A
	buffer_load_dwordx4 a[4:7], v42, s[12:15], 0 offen offset:1024// 000000006488: E05C1400 8083042A
	v_mfma_f32_16x16x128_f8f6f4 v[232:235], a[72:79], v[128:135], 0// 000000006490: D3AD00E8 0A030148
	ds_read_b32 v68, v5 offset:38432                           // 000000006498: D86C9620 44000005
	ds_read_b32 v69, v5 offset:42784                           // 0000000064A0: D86CA720 45000005
	ds_read_b32 v70, v5 offset:38440                           // 0000000064A8: D86C9628 46000005
	ds_read_b32 v71, v5 offset:42792                           // 0000000064B0: D86CA728 47000005
	v_mfma_f32_16x16x128_f8f6f4 v[236:239], a[72:79], v[144:151], 0// 0000000064B8: D3AD00EC 0A032148
	buffer_load_dwordx4 a[8:11], v43, s[12:15], 0 offen        // 0000000064C0: E05C1000 8083082B
	buffer_load_dwordx4 a[12:15], v43, s[12:15], 0 offen offset:1024// 0000000064C8: E05C1400 80830C2B
	buffer_load_dword v23, v6, s[16:19], 0 offen               // 0000000064D0: E0501000 80041706
	s_waitcnt vmcnt(13)                                        // 0000000064D8: BF8C0F7D
	v_mfma_f32_16x16x128_f8f6f4 v[240:243], a[80:87], v[128:135], 0// 0000000064DC: D3AD00F0 0A030150
	ds_read_b32 v72, v5 offset:47104                           // 0000000064E4: D86CB800 48000005
	ds_read_b32 v73, v5 offset:51456                           // 0000000064EC: D86CC900 49000005
	ds_read_b32 v74, v5 offset:47112                           // 0000000064F4: D86CB808 4A000005
	ds_read_b32 v75, v5 offset:51464                           // 0000000064FC: D86CC908 4B000005
	v_mfma_f32_16x16x128_f8f6f4 v[244:247], a[80:87], v[144:151], 0// 000000006504: D3AD00F4 0A032150
	buffer_load_dwordx4 a[16:19], v44, s[12:15], 0 offen       // 00000000650C: E05C1000 8083102C
	buffer_load_dwordx4 a[20:23], v44, s[12:15], 0 offen offset:1024// 000000006514: E05C1400 8083142C
	v_mfma_f32_16x16x128_f8f6f4 v[248:251], a[88:95], v[128:135], 0// 00000000651C: D3AD00F8 0A030158
	ds_read_b32 v76, v5 offset:47136                           // 000000006524: D86CB820 4C000005
	ds_read_b32 v77, v5 offset:51488                           // 00000000652C: D86CC920 4D000005
	ds_read_b32 v78, v5 offset:47144                           // 000000006534: D86CB828 4E000005
	ds_read_b32 v79, v5 offset:51496                           // 00000000653C: D86CC928 4F000005
	v_mfma_f32_16x16x128_f8f6f4 v[252:255], a[88:95], v[144:151], 0// 000000006544: D3AD00FC 0A032158
	buffer_load_dwordx4 a[24:27], v45, s[12:15], 0 offen       // 00000000654C: E05C1000 8083182D
	buffer_load_dwordx4 a[28:31], v45, s[12:15], 0 offen offset:1024// 000000006554: E05C1400 80831C2D
	s_add_u32 s12, s78, s12                                    // 00000000655C: 800C0C4E
	s_addc_u32 s13, 0, s13                                     // 000000006560: 820D0D80
	v_mul_f32_dpp v50, v24, v32 row_newbcast:0 row_mask:0xf bank_mask:0xf// 000000006564: 0A6440FA FF015018
	v_mov_b32_e32 v51, v50                                     // 00000000656C: 7E660332
	v_pk_mul_f32 v[224:225], v[50:51], v[224:225]              // 000000006570: D3B140E0 1803C132
	v_pk_mul_f32 v[226:227], v[50:51], v[226:227]              // 000000006578: D3B140E2 1803C532
	v_pk_mul_f32 v[232:233], v[50:51], v[232:233]              // 000000006580: D3B140E8 1803D132
	v_pk_mul_f32 v[234:235], v[50:51], v[234:235]              // 000000006588: D3B140EA 1803D532
	v_mul_f32_dpp v50, v24, v32 row_newbcast:1 row_mask:0xf bank_mask:0xf// 000000006590: 0A6440FA FF015118
	v_mov_b32_e32 v51, v50                                     // 000000006598: 7E660332
	v_pk_mul_f32 v[240:241], v[50:51], v[240:241]              // 00000000659C: D3B140F0 1803E132
	v_pk_mul_f32 v[242:243], v[50:51], v[242:243]              // 0000000065A4: D3B140F2 1803E532
	v_pk_mul_f32 v[248:249], v[50:51], v[248:249]              // 0000000065AC: D3B140F8 1803F132
	v_pk_mul_f32 v[250:251], v[50:51], v[250:251]              // 0000000065B4: D3B140FA 1803F532
	v_mul_f32_dpp v50, v24, v33 row_newbcast:0 row_mask:0xf bank_mask:0xf// 0000000065BC: 0A6442FA FF015018
	v_mov_b32_e32 v51, v50                                     // 0000000065C4: 7E660332
	v_pk_mul_f32 v[228:229], v[50:51], v[228:229]              // 0000000065C8: D3B140E4 1803C932
	v_pk_mul_f32 v[230:231], v[50:51], v[230:231]              // 0000000065D0: D3B140E6 1803CD32
	v_pk_mul_f32 v[236:237], v[50:51], v[236:237]              // 0000000065D8: D3B140EC 1803D932
	v_pk_mul_f32 v[238:239], v[50:51], v[238:239]              // 0000000065E0: D3B140EE 1803DD32
	v_mul_f32_dpp v50, v24, v33 row_newbcast:1 row_mask:0xf bank_mask:0xf// 0000000065E8: 0A6442FA FF015118
	v_mov_b32_e32 v51, v50                                     // 0000000065F0: 7E660332
	v_pk_mul_f32 v[244:245], v[50:51], v[244:245]              // 0000000065F4: D3B140F4 1803E932
	v_pk_mul_f32 v[246:247], v[50:51], v[246:247]              // 0000000065FC: D3B140F6 1803ED32
	v_pk_mul_f32 v[252:253], v[50:51], v[252:253]              // 000000006604: D3B140FC 1803F932
	v_pk_mul_f32 v[254:255], v[50:51], v[254:255]              // 00000000660C: D3B140FE 1803FD32
	s_waitcnt vmcnt(13)                                        // 000000006614: BF8C0F7D
	v_mfma_f32_16x16x128_f8f6f4 v[160:163], a[96:103], v[136:143], 0// 000000006618: D3AD00A0 0A031160
	ds_write_b64 v4, v[192:193] offset:20992                   // 000000006620: D89A5200 0000C004
	ds_write_b64 v4, v[194:195] offset:29696                   // 000000006628: D89A7400 0000C204
	v_mfma_f32_16x16x128_f8f6f4 v[164:167], a[96:103], v[152:159], 0// 000000006630: D3AD00A4 0A033160
	buffer_load_dwordx4 a[32:35], v42, s[12:15], 0 offen       // 000000006638: E05C1000 8083202A
	buffer_load_dwordx4 a[36:39], v42, s[12:15], 0 offen offset:1024// 000000006640: E05C1400 8083242A
	v_mfma_f32_16x16x128_f8f6f4 v[168:171], a[104:111], v[136:143], 0// 000000006648: D3AD00A8 0A031168
	ds_write_b64 v4, v[196:197] offset:23168                   // 000000006650: D89A5A80 0000C404
	ds_write_b64 v4, v[198:199] offset:31872                   // 000000006658: D89A7C80 0000C604
	v_mfma_f32_16x16x128_f8f6f4 v[172:175], a[104:111], v[152:159], 0// 000000006660: D3AD00AC 0A033168
	buffer_load_dwordx4 a[40:43], v43, s[12:15], 0 offen       // 000000006668: E05C1000 8083282B
	buffer_load_dwordx4 a[44:47], v43, s[12:15], 0 offen offset:1024// 000000006670: E05C1400 80832C2B
	s_waitcnt vmcnt(13)                                        // 000000006678: BF8C0F7D
	v_mfma_f32_16x16x128_f8f6f4 v[176:179], a[112:119], v[136:143], 0// 00000000667C: D3AD00B0 0A031170
	ds_write_b64 v4, v[200:201] offset:25344                   // 000000006684: D89A6300 0000C804
	ds_write_b64 v4, v[202:203] offset:34048                   // 00000000668C: D89A8500 0000CA04
	v_mfma_f32_16x16x128_f8f6f4 v[180:183], a[112:119], v[152:159], 0// 000000006694: D3AD00B4 0A033170
	buffer_load_dwordx4 a[48:51], v44, s[12:15], 0 offen       // 00000000669C: E05C1000 8083302C
	buffer_load_dwordx4 a[52:55], v44, s[12:15], 0 offen offset:1024// 0000000066A4: E05C1400 8083342C
	v_mfma_f32_16x16x128_f8f6f4 v[184:187], a[120:127], v[136:143], 0// 0000000066AC: D3AD00B8 0A031178
	ds_write_b64 v4, v[204:205] offset:27520                   // 0000000066B4: D89A6B80 0000CC04
	ds_write_b64 v4, v[206:207] offset:36224                   // 0000000066BC: D89A8D80 0000CE04
	v_mfma_f32_16x16x128_f8f6f4 v[188:191], a[120:127], v[152:159], 0// 0000000066C4: D3AD00BC 0A033178
	buffer_load_dwordx4 a[56:59], v45, s[12:15], 0 offen       // 0000000066CC: E05C1000 8083382D
	buffer_load_dwordx4 a[60:63], v45, s[12:15], 0 offen offset:1024// 0000000066D4: E05C1400 80833C2D
	v_mul_f32_dpp v50, v24, v34 row_newbcast:2 row_mask:0xf bank_mask:0xf// 0000000066DC: 0A6444FA FF015218
	v_mov_b32_e32 v51, v50                                     // 0000000066E4: 7E660332
	v_pk_fma_f32 v[224:225], v[160:161], v[50:51], v[224:225]  // 0000000066E8: D3B040E0 1F8265A0
	v_pk_fma_f32 v[226:227], v[162:163], v[50:51], v[226:227]  // 0000000066F0: D3B040E2 1F8A65A2
	v_pk_fma_f32 v[232:233], v[168:169], v[50:51], v[232:233]  // 0000000066F8: D3B040E8 1FA265A8
	v_pk_fma_f32 v[234:235], v[170:171], v[50:51], v[234:235]  // 000000006700: D3B040EA 1FAA65AA
	v_mul_f32_dpp v50, v24, v34 row_newbcast:3 row_mask:0xf bank_mask:0xf// 000000006708: 0A6444FA FF015318
	v_mov_b32_e32 v51, v50                                     // 000000006710: 7E660332
	v_pk_fma_f32 v[240:241], v[176:177], v[50:51], v[240:241]  // 000000006714: D3B040F0 1FC265B0
	v_pk_fma_f32 v[242:243], v[178:179], v[50:51], v[242:243]  // 00000000671C: D3B040F2 1FCA65B2
	v_pk_fma_f32 v[248:249], v[184:185], v[50:51], v[248:249]  // 000000006724: D3B040F8 1FE265B8
	v_pk_fma_f32 v[250:251], v[186:187], v[50:51], v[250:251]  // 00000000672C: D3B040FA 1FEA65BA
	v_mul_f32_dpp v50, v24, v35 row_newbcast:2 row_mask:0xf bank_mask:0xf// 000000006734: 0A6446FA FF015218
	v_mov_b32_e32 v51, v50                                     // 00000000673C: 7E660332
	v_pk_fma_f32 v[228:229], v[164:165], v[50:51], v[228:229]  // 000000006740: D3B040E4 1F9265A4
	v_pk_fma_f32 v[230:231], v[166:167], v[50:51], v[230:231]  // 000000006748: D3B040E6 1F9A65A6
	v_pk_fma_f32 v[236:237], v[172:173], v[50:51], v[236:237]  // 000000006750: D3B040EC 1FB265AC
	v_pk_fma_f32 v[238:239], v[174:175], v[50:51], v[238:239]  // 000000006758: D3B040EE 1FBA65AE
	v_mul_f32_dpp v50, v24, v35 row_newbcast:3 row_mask:0xf bank_mask:0xf// 000000006760: 0A6446FA FF015318
	v_mov_b32_e32 v51, v50                                     // 000000006768: 7E660332
	v_pk_fma_f32 v[244:245], v[180:181], v[50:51], v[244:245]  // 00000000676C: D3B040F4 1FD265B4
	v_pk_fma_f32 v[246:247], v[182:183], v[50:51], v[246:247]  // 000000006774: D3B040F6 1FDA65B6
	v_pk_fma_f32 v[252:253], v[188:189], v[50:51], v[252:253]  // 00000000677C: D3B040FC 1FF265BC
	v_pk_fma_f32 v[254:255], v[190:191], v[50:51], v[254:255]  // 000000006784: D3B040FE 1FFA65BE
	s_add_u32 s60, 0x200, s80                                  // 00000000678C: 803C50FF 00000200
	s_cmp_lt_u32 s60, s81                                      // 000000006794: BF0A513C
	s_cselect_b32 s56, s56, 0                                  // 000000006798: 85388038
	s_cselect_b32 s78, s78, 0                                  // 00000000679C: 854E804E
	s_cselect_b32 s79, s79, 0                                  // 0000000067A0: 854F804F
	s_add_u32 s12, s56, s12                                    // 0000000067A4: 800C0C38
	s_addc_u32 s13, 0, s13                                     // 0000000067A8: 820D0D80
	s_add_u32 s16, s79, s16                                    // 0000000067AC: 8010104F
	s_addc_u32 s17, 0, s17                                     // 0000000067B0: 82111180
	v_mov_b32_e32 v50, v25                                     // 0000000067B4: 7E640319
	v_mov_b32_e32 v51, v25                                     // 0000000067B8: 7E660319
	v_pk_mul_f32 v[224:225], v[50:51], v[224:225]              // 0000000067BC: D3B140E0 1803C132
	v_pk_mul_f32 v[226:227], v[50:51], v[226:227]              // 0000000067C4: D3B140E2 1803C532
	v_pk_mul_f32 v[232:233], v[50:51], v[232:233]              // 0000000067CC: D3B140E8 1803D132
	v_pk_mul_f32 v[234:235], v[50:51], v[234:235]              // 0000000067D4: D3B140EA 1803D532
	v_pk_mul_f32 v[240:241], v[50:51], v[240:241]              // 0000000067DC: D3B140F0 1803E132
	v_pk_mul_f32 v[242:243], v[50:51], v[242:243]              // 0000000067E4: D3B140F2 1803E532
	v_pk_mul_f32 v[248:249], v[50:51], v[248:249]              // 0000000067EC: D3B140F8 1803F132
	v_pk_mul_f32 v[250:251], v[50:51], v[250:251]              // 0000000067F4: D3B140FA 1803F532
	v_mov_b32_e32 v50, v26                                     // 0000000067FC: 7E64031A
	v_mov_b32_e32 v51, v26                                     // 000000006800: 7E66031A
	v_pk_mul_f32 v[228:229], v[50:51], v[228:229]              // 000000006804: D3B140E4 1803C932
	v_pk_mul_f32 v[230:231], v[50:51], v[230:231]              // 00000000680C: D3B140E6 1803CD32
	v_pk_mul_f32 v[236:237], v[50:51], v[236:237]              // 000000006814: D3B140EC 1803D932
	v_pk_mul_f32 v[238:239], v[50:51], v[238:239]              // 00000000681C: D3B140EE 1803DD32
	v_pk_mul_f32 v[244:245], v[50:51], v[244:245]              // 000000006824: D3B140F4 1803E932
	v_pk_mul_f32 v[246:247], v[50:51], v[246:247]              // 00000000682C: D3B140F6 1803ED32
	v_pk_mul_f32 v[252:253], v[50:51], v[252:253]              // 000000006834: D3B140FC 1803F932
	v_pk_mul_f32 v[254:255], v[50:51], v[254:255]              // 00000000683C: D3B140FE 1803FD32
	v_cvt_pk_bf16_f32 v224, v224, v225                         // 000000006844: D26800E0 0003C3E0
	v_cvt_pk_bf16_f32 v225, v226, v227                         // 00000000684C: D26800E1 0003C7E2
	v_cvt_pk_bf16_f32 v226, v228, v229                         // 000000006854: D26800E2 0003CBE4
	v_cvt_pk_bf16_f32 v227, v230, v231                         // 00000000685C: D26800E3 0003CFE6
	v_cvt_pk_bf16_f32 v228, v232, v233                         // 000000006864: D26800E4 0003D3E8
	v_cvt_pk_bf16_f32 v229, v234, v235                         // 00000000686C: D26800E5 0003D7EA
	v_cvt_pk_bf16_f32 v230, v236, v237                         // 000000006874: D26800E6 0003DBEC
	v_cvt_pk_bf16_f32 v231, v238, v239                         // 00000000687C: D26800E7 0003DFEE
	v_cvt_pk_bf16_f32 v232, v240, v241                         // 000000006884: D26800E8 0003E3F0
	v_cvt_pk_bf16_f32 v233, v242, v243                         // 00000000688C: D26800E9 0003E7F2
	v_cvt_pk_bf16_f32 v234, v244, v245                         // 000000006894: D26800EA 0003EBF4
	v_cvt_pk_bf16_f32 v235, v246, v247                         // 00000000689C: D26800EB 0003EFF6
	v_cvt_pk_bf16_f32 v236, v248, v249                         // 0000000068A4: D26800EC 0003F3F8
	v_cvt_pk_bf16_f32 v237, v250, v251                         // 0000000068AC: D26800ED 0003F7FA
	v_cvt_pk_bf16_f32 v238, v252, v253                         // 0000000068B4: D26800EE 0003FBFC
	v_cvt_pk_bf16_f32 v239, v254, v255                         // 0000000068BC: D26800EF 0003FFFE
	s_cmp_ge_u32 s80, 0x200                                    // 0000000068C4: BF09FF50 00000200
	s_cselect_b32 s59, 0x200, s59                              // 0000000068CC: 853B3BFF 00000200
	s_setvskip s20, 0                                          // 0000000068D4: BF108014
	global_atomic_pk_add_bf16 v80, v64, s[8:9]                 // 0000000068D8: DD488000 00084050
	s_setvskip 0, 0                                            // 0000000068E0: BF108080
	s_setvskip s20, 0                                          // 0000000068E4: BF108014
	global_atomic_pk_add_bf16 v80, v65, s[8:9] offset:256      // 0000000068E8: DD488100 00084150
	s_setvskip 0, 0                                            // 0000000068F0: BF108080
	s_setvskip s20, 1                                          // 0000000068F4: BF108114
	global_atomic_pk_add_bf16 v82, v66, s[8:9]                 // 0000000068F8: DD488000 00084252
	s_setvskip 0, 0                                            // 000000006900: BF108080
	s_setvskip s20, 1                                          // 000000006904: BF108114
	global_atomic_pk_add_bf16 v82, v67, s[8:9] offset:256      // 000000006908: DD488100 00084352
	s_setvskip 0, 0                                            // 000000006910: BF108080
	s_setvskip s20, 2                                          // 000000006914: BF108214
	global_atomic_pk_add_bf16 v84, v68, s[8:9]                 // 000000006918: DD488000 00084454
	s_setvskip 0, 0                                            // 000000006920: BF108080
	s_setvskip s20, 2                                          // 000000006924: BF108214
	global_atomic_pk_add_bf16 v84, v69, s[8:9] offset:256      // 000000006928: DD488100 00084554
	s_setvskip 0, 0                                            // 000000006930: BF108080
	s_setvskip s20, 3                                          // 000000006934: BF108314
	global_atomic_pk_add_bf16 v86, v70, s[8:9]                 // 000000006938: DD488000 00084656
	s_setvskip 0, 0                                            // 000000006940: BF108080
	s_setvskip s20, 3                                          // 000000006944: BF108314
	global_atomic_pk_add_bf16 v86, v71, s[8:9] offset:256      // 000000006948: DD488100 00084756
	s_setvskip 0, 0                                            // 000000006950: BF108080
	s_setvskip s20, 4                                          // 000000006954: BF108414
	global_atomic_pk_add_bf16 v88, v72, s[8:9]                 // 000000006958: DD488000 00084858
	s_setvskip 0, 0                                            // 000000006960: BF108080
	s_setvskip s20, 4                                          // 000000006964: BF108414
	global_atomic_pk_add_bf16 v88, v73, s[8:9] offset:256      // 000000006968: DD488100 00084958
	s_setvskip 0, 0                                            // 000000006970: BF108080
	s_setvskip s20, 5                                          // 000000006974: BF108514
	global_atomic_pk_add_bf16 v90, v74, s[8:9]                 // 000000006978: DD488000 00084A5A
	s_setvskip 0, 0                                            // 000000006980: BF108080
	s_setvskip s20, 5                                          // 000000006984: BF108514
	global_atomic_pk_add_bf16 v90, v75, s[8:9] offset:256      // 000000006988: DD488100 00084B5A
	s_setvskip 0, 0                                            // 000000006990: BF108080
	s_setvskip s20, 6                                          // 000000006994: BF108614
	global_atomic_pk_add_bf16 v92, v76, s[8:9]                 // 000000006998: DD488000 00084C5C
	s_setvskip 0, 0                                            // 0000000069A0: BF108080
	s_setvskip s20, 6                                          // 0000000069A4: BF108614
	global_atomic_pk_add_bf16 v92, v77, s[8:9] offset:256      // 0000000069A8: DD488100 00084D5C
	s_setvskip 0, 0                                            // 0000000069B0: BF108080
	s_setvskip s20, 7                                          // 0000000069B4: BF108714
	global_atomic_pk_add_bf16 v94, v78, s[8:9]                 // 0000000069B8: DD488000 00084E5E
	s_setvskip 0, 0                                            // 0000000069C0: BF108080
	s_setvskip s20, 7                                          // 0000000069C4: BF108714
	global_atomic_pk_add_bf16 v94, v79, s[8:9] offset:256      // 0000000069C8: DD488100 00084F5E
	s_setvskip 0, 0                                            // 0000000069D0: BF108080
	s_add_u32 s8, s59, s8                                      // 0000000069D4: 8008083B
	s_addc_u32 s9, 0, s9                                       // 0000000069D8: 82090980
	s_addk_i32 s80, 0x100                                      // 0000000069DC: B7500100
	s_cmp_lt_i32 s80, s81                                      // 0000000069E0: BF045150
	s_cbranch_scc0 label_0EFB                                  // 0000000069E4: BF840001
	s_branch label_0C2A                                        // 0000000069E8: BF82FD2F

00000000000069ec <label_0EFB>:
	s_nop 0                                                    // 0000000069EC: BF800000
	s_nop 0                                                    // 0000000069F0: BF800000
	s_branch label_19CE                                        // 0000000069F4: BF820AD0

00000000000069f8 <label_0EFE>:
	s_waitcnt vmcnt(12) lgkmcnt(0)                             // 0000000069F8: BF8C007C
	s_barrier                                                  // 0000000069FC: BF8A0000
	v_mfma_f32_16x16x128_f8f6f4 v[160:163], a[0:7], v[192:199], 0// 000000006A00: D3AD00A0 0A038100
	buffer_load_dword v24, v13, s[32:35], 0 offen              // 000000006A08: E0501000 8008180D
	buffer_load_dwordx4 a[64:67], v38, s[92:95], 0 offen       // 000000006A10: E05C1000 80974026
	buffer_load_dwordx4 a[68:71], v38, s[92:95], 0 offen offset:1024// 000000006A18: E05C1400 80974426
	v_mfma_f32_16x16x128_f8f6f4 v[164:167], a[0:7], v[208:215], 0// 000000006A20: D3AD00A4 0A03A100
	v_mfma_f32_16x16x128_f8f6f4 v[168:171], a[8:15], v[192:199], 0// 000000006A28: D3AD00A8 0A038108
	buffer_load_dwordx4 a[72:75], v39, s[92:95], 0 offen       // 000000006A30: E05C1000 80974827
	buffer_load_dwordx4 a[76:79], v39, s[92:95], 0 offen offset:1024// 000000006A38: E05C1400 80974C27
	buffer_load_dwordx4 v[224:227], v36, s[20:23], 0 offen     // 000000006A40: E05C1000 8005E024
	buffer_load_dwordx4 v[228:231], v36, s[20:23], 0 offen offset:16// 000000006A48: E05C1010 8005E424
	buffer_load_dwordx4 v[232:235], v37, s[20:23], 0 offen     // 000000006A50: E05C1000 8005E825
	buffer_load_dwordx4 v[236:239], v37, s[20:23], 0 offen offset:16// 000000006A58: E05C1010 8005EC25
	v_mfma_f32_16x16x128_f8f6f4 v[172:175], a[8:15], v[208:215], 0// 000000006A60: D3AD00AC 0A03A108
	s_waitcnt vmcnt(17)                                        // 000000006A68: BF8C4F71
	v_mfma_f32_16x16x128_f8f6f4 v[176:179], a[16:23], v[192:199], 0// 000000006A6C: D3AD00B0 0A038110
	buffer_load_dwordx4 a[80:83], v40, s[92:95], 0 offen       // 000000006A74: E05C1000 80975028
	buffer_load_dwordx4 a[84:87], v40, s[92:95], 0 offen offset:1024// 000000006A7C: E05C1400 80975428
	v_mfma_f32_16x16x128_f8f6f4 v[180:183], a[16:23], v[208:215], 0// 000000006A84: D3AD00B4 0A03A110
	v_mfma_f32_16x16x128_f8f6f4 v[184:187], a[24:31], v[192:199], 0// 000000006A8C: D3AD00B8 0A038118
	buffer_load_dwordx4 a[88:91], v41, s[92:95], 0 offen       // 000000006A94: E05C1000 80975829
	buffer_load_dwordx4 a[92:95], v41, s[92:95], 0 offen offset:1024// 000000006A9C: E05C1400 80975C29
	v_mfma_f32_16x16x128_f8f6f4 v[188:191], a[24:31], v[208:215], 0// 000000006AA4: D3AD00BC 0A03A118
	v_mul_f32_dpp v50, v23, v15 row_newbcast:0 row_mask:0xf bank_mask:0xf// 000000006AAC: 0A641EFA FF015017
	v_mov_b32_e32 v51, v50                                     // 000000006AB4: 7E660332
	v_pk_fma_f32 v[128:129], v[160:161], v[50:51], v[128:129]  // 000000006AB8: D3B04080 1E0265A0
	v_pk_fma_f32 v[130:131], v[162:163], v[50:51], v[130:131]  // 000000006AC0: D3B04082 1E0A65A2
	v_pk_fma_f32 v[136:137], v[168:169], v[50:51], v[136:137]  // 000000006AC8: D3B04088 1E2265A8
	v_pk_fma_f32 v[138:139], v[170:171], v[50:51], v[138:139]  // 000000006AD0: D3B0408A 1E2A65AA
	v_mul_f32_dpp v50, v23, v15 row_newbcast:1 row_mask:0xf bank_mask:0xf// 000000006AD8: 0A641EFA FF015117
	v_mov_b32_e32 v51, v50                                     // 000000006AE0: 7E660332
	v_pk_fma_f32 v[144:145], v[176:177], v[50:51], v[144:145]  // 000000006AE4: D3B04090 1E4265B0
	v_pk_fma_f32 v[146:147], v[178:179], v[50:51], v[146:147]  // 000000006AEC: D3B04092 1E4A65B2
	v_pk_fma_f32 v[152:153], v[184:185], v[50:51], v[152:153]  // 000000006AF4: D3B04098 1E6265B8
	v_pk_fma_f32 v[154:155], v[186:187], v[50:51], v[154:155]  // 000000006AFC: D3B0409A 1E6A65BA
	v_mul_f32_dpp v50, v23, v16 row_newbcast:0 row_mask:0xf bank_mask:0xf// 000000006B04: 0A6420FA FF015017
	v_mov_b32_e32 v51, v50                                     // 000000006B0C: 7E660332
	v_pk_fma_f32 v[132:133], v[164:165], v[50:51], v[132:133]  // 000000006B10: D3B04084 1E1265A4
	v_pk_fma_f32 v[134:135], v[166:167], v[50:51], v[134:135]  // 000000006B18: D3B04086 1E1A65A6
	v_pk_fma_f32 v[140:141], v[172:173], v[50:51], v[140:141]  // 000000006B20: D3B0408C 1E3265AC
	v_pk_fma_f32 v[142:143], v[174:175], v[50:51], v[142:143]  // 000000006B28: D3B0408E 1E3A65AE
	v_mul_f32_dpp v50, v23, v16 row_newbcast:1 row_mask:0xf bank_mask:0xf// 000000006B30: 0A6420FA FF015117
	v_mov_b32_e32 v51, v50                                     // 000000006B38: 7E660332
	v_pk_fma_f32 v[148:149], v[180:181], v[50:51], v[148:149]  // 000000006B3C: D3B04094 1E5265B4
	v_pk_fma_f32 v[150:151], v[182:183], v[50:51], v[150:151]  // 000000006B44: D3B04096 1E5A65B6
	v_pk_fma_f32 v[156:157], v[188:189], v[50:51], v[156:157]  // 000000006B4C: D3B0409C 1E7265BC
	v_pk_fma_f32 v[158:159], v[190:191], v[50:51], v[158:159]  // 000000006B54: D3B0409E 1E7A65BE
	s_waitcnt vmcnt(17)                                        // 000000006B5C: BF8C4F71
	v_mfma_f32_16x16x128_f8f6f4 v[160:163], a[32:39], v[200:207], 0// 000000006B60: D3AD00A0 0A039120
	buffer_load_dwordx4 a[96:99], v38, s[92:95], 0 offen offset:2048// 000000006B68: E05C1800 80976026
	buffer_load_dwordx4 a[100:103], v38, s[92:95], 0 offen offset:3072// 000000006B70: E05C1C00 80976426
	v_mfma_f32_16x16x128_f8f6f4 v[164:167], a[32:39], v[216:223], 0// 000000006B78: D3AD00A4 0A03B120
	v_mfma_f32_16x16x128_f8f6f4 v[168:171], a[40:47], v[200:207], 0// 000000006B80: D3AD00A8 0A039128
	buffer_load_dwordx4 a[104:107], v39, s[92:95], 0 offen offset:2048// 000000006B88: E05C1800 80976827
	buffer_load_dwordx4 a[108:111], v39, s[92:95], 0 offen offset:3072// 000000006B90: E05C1C00 80976C27
	v_mfma_f32_16x16x128_f8f6f4 v[172:175], a[40:47], v[216:223], 0// 000000006B98: D3AD00AC 0A03B128
	s_waitcnt vmcnt(17)                                        // 000000006BA0: BF8C4F71
	v_mfma_f32_16x16x128_f8f6f4 v[176:179], a[48:55], v[200:207], 0// 000000006BA4: D3AD00B0 0A039130
	buffer_load_dwordx4 a[112:115], v40, s[92:95], 0 offen offset:2048// 000000006BAC: E05C1800 80977028
	buffer_load_dwordx4 a[116:119], v40, s[92:95], 0 offen offset:3072// 000000006BB4: E05C1C00 80977428
	v_mfma_f32_16x16x128_f8f6f4 v[180:183], a[48:55], v[216:223], 0// 000000006BBC: D3AD00B4 0A03B130
	v_mfma_f32_16x16x128_f8f6f4 v[184:187], a[56:63], v[200:207], 0// 000000006BC4: D3AD00B8 0A039138
	buffer_load_dwordx4 a[120:123], v41, s[92:95], 0 offen offset:2048// 000000006BCC: E05C1800 80977829
	buffer_load_dwordx4 a[124:127], v41, s[92:95], 0 offen offset:3072// 000000006BD4: E05C1C00 80977C29
	v_mfma_f32_16x16x128_f8f6f4 v[188:191], a[56:63], v[216:223], 0// 000000006BDC: D3AD00BC 0A03B138
	v_mul_f32_dpp v50, v23, v17 row_newbcast:2 row_mask:0xf bank_mask:0xf// 000000006BE4: 0A6422FA FF015217
	v_mov_b32_e32 v51, v50                                     // 000000006BEC: 7E660332
	v_pk_fma_f32 v[128:129], v[160:161], v[50:51], v[128:129]  // 000000006BF0: D3B04080 1E0265A0
	v_pk_fma_f32 v[130:131], v[162:163], v[50:51], v[130:131]  // 000000006BF8: D3B04082 1E0A65A2
	v_pk_fma_f32 v[136:137], v[168:169], v[50:51], v[136:137]  // 000000006C00: D3B04088 1E2265A8
	v_pk_fma_f32 v[138:139], v[170:171], v[50:51], v[138:139]  // 000000006C08: D3B0408A 1E2A65AA
	v_mul_f32_dpp v50, v23, v17 row_newbcast:3 row_mask:0xf bank_mask:0xf// 000000006C10: 0A6422FA FF015317
	v_mov_b32_e32 v51, v50                                     // 000000006C18: 7E660332
	v_pk_fma_f32 v[144:145], v[176:177], v[50:51], v[144:145]  // 000000006C1C: D3B04090 1E4265B0
	v_pk_fma_f32 v[146:147], v[178:179], v[50:51], v[146:147]  // 000000006C24: D3B04092 1E4A65B2
	v_pk_fma_f32 v[152:153], v[184:185], v[50:51], v[152:153]  // 000000006C2C: D3B04098 1E6265B8
	v_pk_fma_f32 v[154:155], v[186:187], v[50:51], v[154:155]  // 000000006C34: D3B0409A 1E6A65BA
	v_mul_f32_dpp v50, v23, v18 row_newbcast:2 row_mask:0xf bank_mask:0xf// 000000006C3C: 0A6424FA FF015217
	v_mov_b32_e32 v51, v50                                     // 000000006C44: 7E660332
	v_pk_fma_f32 v[132:133], v[164:165], v[50:51], v[132:133]  // 000000006C48: D3B04084 1E1265A4
	v_pk_fma_f32 v[134:135], v[166:167], v[50:51], v[134:135]  // 000000006C50: D3B04086 1E1A65A6
	v_pk_fma_f32 v[140:141], v[172:173], v[50:51], v[140:141]  // 000000006C58: D3B0408C 1E3265AC
	v_pk_fma_f32 v[142:143], v[174:175], v[50:51], v[142:143]  // 000000006C60: D3B0408E 1E3A65AE
	v_mul_f32_dpp v50, v23, v18 row_newbcast:3 row_mask:0xf bank_mask:0xf// 000000006C68: 0A6424FA FF015317
	v_mov_b32_e32 v51, v50                                     // 000000006C70: 7E660332
	v_pk_fma_f32 v[148:149], v[180:181], v[50:51], v[148:149]  // 000000006C74: D3B04094 1E5265B4
	v_pk_fma_f32 v[150:151], v[182:183], v[50:51], v[150:151]  // 000000006C7C: D3B04096 1E5A65B6
	v_pk_fma_f32 v[156:157], v[188:189], v[50:51], v[156:157]  // 000000006C84: D3B0409C 1E7265BC
	v_pk_fma_f32 v[158:159], v[190:191], v[50:51], v[158:159]  // 000000006C8C: D3B0409E 1E7A65BE
	s_waitcnt vmcnt(10)                                        // 000000006C94: BF8C0F7A
	v_mov_b32_e32 v28, 0x358637bd                              // 000000006C98: 7E3802FF 358637BD
	v_lshlrev_b32_e32 v50, 16, v224                            // 000000006CA0: 2465C090
	v_and_b32_e32 v51, 0xffff0000, v224                        // 000000006CA4: 2667C0FF FFFF0000
	v_max3_f32 v28, |v51|, |v50|, v28                          // 000000006CAC: D1D3031C 04726533
	v_lshlrev_b32_e32 v50, 16, v225                            // 000000006CB4: 2465C290
	v_and_b32_e32 v51, 0xffff0000, v225                        // 000000006CB8: 2667C2FF FFFF0000
	v_max3_f32 v28, |v51|, |v50|, v28                          // 000000006CC0: D1D3031C 04726533
	v_lshlrev_b32_e32 v50, 16, v226                            // 000000006CC8: 2465C490
	v_and_b32_e32 v51, 0xffff0000, v226                        // 000000006CCC: 2667C4FF FFFF0000
	v_max3_f32 v28, |v51|, |v50|, v28                          // 000000006CD4: D1D3031C 04726533
	v_lshlrev_b32_e32 v50, 16, v227                            // 000000006CDC: 2465C690
	v_and_b32_e32 v51, 0xffff0000, v227                        // 000000006CE0: 2667C6FF FFFF0000
	v_max3_f32 v28, |v51|, |v50|, v28                          // 000000006CE8: D1D3031C 04726533
	v_lshlrev_b32_e32 v50, 16, v228                            // 000000006CF0: 2465C890
	v_and_b32_e32 v51, 0xffff0000, v228                        // 000000006CF4: 2667C8FF FFFF0000
	v_max3_f32 v28, |v51|, |v50|, v28                          // 000000006CFC: D1D3031C 04726533
	v_lshlrev_b32_e32 v50, 16, v229                            // 000000006D04: 2465CA90
	v_and_b32_e32 v51, 0xffff0000, v229                        // 000000006D08: 2667CAFF FFFF0000
	v_max3_f32 v28, |v51|, |v50|, v28                          // 000000006D10: D1D3031C 04726533
	v_lshlrev_b32_e32 v50, 16, v230                            // 000000006D18: 2465CC90
	v_and_b32_e32 v51, 0xffff0000, v230                        // 000000006D1C: 2667CCFF FFFF0000
	v_max3_f32 v28, |v51|, |v50|, v28                          // 000000006D24: D1D3031C 04726533
	v_lshlrev_b32_e32 v50, 16, v231                            // 000000006D2C: 2465CE90
	v_and_b32_e32 v51, 0xffff0000, v231                        // 000000006D30: 2667CEFF FFFF0000
	v_max3_f32 v28, |v51|, |v50|, v28                          // 000000006D38: D1D3031C 04726533
	s_barrier                                                  // 000000006D40: BF8A0000
	v_max_f32_dpp v29, v28, v28 quad_perm:[1,2,3,0] row_mask:0xf bank_mask:0xf// 000000006D44: 163A38FA FF00391C
	s_nop 1                                                    // 000000006D4C: BF800001
	v_max_f32_dpp v50, v29, v29 quad_perm:[2,3,0,1] row_mask:0xf bank_mask:0xf// 000000006D50: 16643AFA FF004E1D
	s_nop 1                                                    // 000000006D58: BF800001
	v_max_f32_dpp v28, v50, v50 row_half_mirror row_mask:0xf bank_mask:0xf// 000000006D5C: 163864FA FF014132
	s_mov_b32 s60, 0x43e00000                                  // 000000006D64: BEBC00FF 43E00000
	s_mov_b32 s61, 0x3b124925                                  // 000000006D6C: BEBD00FF 3B124925
	s_mov_b32 s62, 0xc3e00000                                  // 000000006D74: BEBE00FF C3E00000
	v_rcp_f32_e32 v50, v28                                     // 000000006D7C: 7E64451C
	v_mul_f32_e32 v32, s61, v28                                // 000000006D80: 0A40383D
	v_fma_f32 v51, v32, s62, v28                               // 000000006D84: D1CB0033 04707D20
	v_fma_f32 v32, v51, s61, v32                               // 000000006D8C: D1CB0020 04807B33
	v_mul_f32_e32 v29, s60, v50                                // 000000006D94: 0A3A643C
	v_xor_b32_e32 v51, 0x80000000, v28                         // 000000006D98: 2A6638FF 80000000
	v_fma_f32 v51, v51, v29, s60                               // 000000006DA0: D1CB0033 00F23B33
	v_fma_f32 v28, v51, v50, v29                               // 000000006DA8: D1CB001C 04766533
	v_mov_b32_e32 v29, v28                                     // 000000006DB0: 7E3A031C
	v_lshlrev_b32_e32 v50, 16, v224                            // 000000006DB4: 2465C090
	v_and_b32_e32 v51, 0xffff0000, v224                        // 000000006DB8: 2667C0FF FFFF0000
	v_pk_mul_f32 v[50:51], v[50:51], v[28:29]                  // 000000006DC0: D3B14032 18023932
	v_cvt_pk_fp8_f32 v224, v50, v51                            // 000000006DC8: D2A200E0 00026732
	v_lshlrev_b32_e32 v50, 16, v225                            // 000000006DD0: 2465C290
	v_and_b32_e32 v51, 0xffff0000, v225                        // 000000006DD4: 2667C2FF FFFF0000
	v_pk_mul_f32 v[50:51], v[50:51], v[28:29]                  // 000000006DDC: D3B14032 18023932
	v_cvt_pk_fp8_f32 v224, v50, v51 op_sel:[0,0,1]             // 000000006DE4: D2A240E0 00026732
	v_lshlrev_b32_e32 v50, 16, v226                            // 000000006DEC: 2465C490
	v_and_b32_e32 v51, 0xffff0000, v226                        // 000000006DF0: 2667C4FF FFFF0000
	v_pk_mul_f32 v[50:51], v[50:51], v[28:29]                  // 000000006DF8: D3B14032 18023932
	v_cvt_pk_fp8_f32 v225, v50, v51                            // 000000006E00: D2A200E1 00026732
	v_lshlrev_b32_e32 v50, 16, v227                            // 000000006E08: 2465C690
	v_and_b32_e32 v51, 0xffff0000, v227                        // 000000006E0C: 2667C6FF FFFF0000
	v_pk_mul_f32 v[50:51], v[50:51], v[28:29]                  // 000000006E14: D3B14032 18023932
	v_cvt_pk_fp8_f32 v225, v50, v51 op_sel:[0,0,1]             // 000000006E1C: D2A240E1 00026732
	v_lshlrev_b32_e32 v50, 16, v228                            // 000000006E24: 2465C890
	v_and_b32_e32 v51, 0xffff0000, v228                        // 000000006E28: 2667C8FF FFFF0000
	v_pk_mul_f32 v[50:51], v[50:51], v[28:29]                  // 000000006E30: D3B14032 18023932
	v_cvt_pk_fp8_f32 v226, v50, v51                            // 000000006E38: D2A200E2 00026732
	v_lshlrev_b32_e32 v50, 16, v229                            // 000000006E40: 2465CA90
	v_and_b32_e32 v51, 0xffff0000, v229                        // 000000006E44: 2667CAFF FFFF0000
	v_pk_mul_f32 v[50:51], v[50:51], v[28:29]                  // 000000006E4C: D3B14032 18023932
	v_cvt_pk_fp8_f32 v226, v50, v51 op_sel:[0,0,1]             // 000000006E54: D2A240E2 00026732
	v_lshlrev_b32_e32 v50, 16, v230                            // 000000006E5C: 2465CC90
	v_and_b32_e32 v51, 0xffff0000, v230                        // 000000006E60: 2667CCFF FFFF0000
	v_pk_mul_f32 v[50:51], v[50:51], v[28:29]                  // 000000006E68: D3B14032 18023932
	v_cvt_pk_fp8_f32 v227, v50, v51                            // 000000006E70: D2A200E3 00026732
	v_lshlrev_b32_e32 v50, 16, v231                            // 000000006E78: 2465CE90
	v_and_b32_e32 v51, 0xffff0000, v231                        // 000000006E7C: 2667CEFF FFFF0000
	v_pk_mul_f32 v[50:51], v[50:51], v[28:29]                  // 000000006E84: D3B14032 18023932
	v_cvt_pk_fp8_f32 v227, v50, v51 op_sel:[0,0,1]             // 000000006E8C: D2A240E3 00026732
	v_lshlrev_b32_e32 v50, 4, v0                               // 000000006E94: 24640084
	v_add_u32_e64 v50, v50, s51                                // 000000006E98: D1340032 00006732
	ds_write_b128 v50, v[224:227]                              // 000000006EA0: D9BE0000 0000E032
	v_add_u32_e32 v50, 0, v33                                  // 000000006EA8: 68644280
	s_mov_b64 s[60:61], exec                                   // 000000006EAC: BEBC017E
	s_mov_b32 s62, 0xf0f0f0f                                   // 000000006EB0: BEBE00FF 0F0F0F0F
	s_mov_b32 s63, 0xf0f0f0f                                   // 000000006EB8: BEBF00FF 0F0F0F0F
	s_mov_b64 exec, s[62:63]                                   // 000000006EC0: BEFE013E
	ds_write_b32 v50, v32 offset:17920                         // 000000006EC4: D81A4600 00002032
	s_mov_b64 exec, s[60:61]                                   // 000000006ECC: BEFE013C
	s_add_u32 s60, 0x100, s80                                  // 000000006ED0: 803C50FF 00000100
	s_cmp_lt_u32 s60, s81                                      // 000000006ED8: BF0A513C
	s_cselect_b32 s4, s4, 0                                    // 000000006EDC: 85048004
	s_add_u32 s32, s4, s32                                     // 000000006EE0: 80202004
	s_addc_u32 s33, 0, s33                                     // 000000006EE4: 82212180
	s_waitcnt vmcnt(16)                                        // 000000006EE8: BF8C4F70
	s_barrier                                                  // 000000006EEC: BF8A0000
	v_mfma_f32_16x16x128_f8f6f4 v[160:163], a[64:71], v[192:199], 0// 000000006EF0: D3AD00A0 0A038140
	buffer_load_dword v23, v11, s[32:35], 0 offen              // 000000006EF8: E0501000 8008170B
	buffer_load_dwordx4 a[0:3], v38, s[24:27], 0 offen         // 000000006F00: E05C1000 80860026
	buffer_load_dwordx4 a[4:7], v38, s[24:27], 0 offen offset:1024// 000000006F08: E05C1400 80860426
	v_mfma_f32_16x16x128_f8f6f4 v[164:167], a[64:71], v[208:215], 0// 000000006F10: D3AD00A4 0A03A140
	v_mfma_f32_16x16x128_f8f6f4 v[168:171], a[72:79], v[192:199], 0// 000000006F18: D3AD00A8 0A038148
	buffer_load_dwordx4 a[8:11], v39, s[24:27], 0 offen        // 000000006F20: E05C1000 80860827
	buffer_load_dwordx4 a[12:15], v39, s[24:27], 0 offen offset:1024// 000000006F28: E05C1400 80860C27
	v_mfma_f32_16x16x128_f8f6f4 v[172:175], a[72:79], v[208:215], 0// 000000006F30: D3AD00AC 0A03A148
	s_waitcnt vmcnt(13)                                        // 000000006F38: BF8C0F7D
	v_mfma_f32_16x16x128_f8f6f4 v[176:179], a[80:87], v[192:199], 0// 000000006F3C: D3AD00B0 0A038150
	buffer_load_dwordx4 a[16:19], v40, s[24:27], 0 offen       // 000000006F44: E05C1000 80861028
	buffer_load_dwordx4 a[20:23], v40, s[24:27], 0 offen offset:1024// 000000006F4C: E05C1400 80861428
	v_mfma_f32_16x16x128_f8f6f4 v[180:183], a[80:87], v[208:215], 0// 000000006F54: D3AD00B4 0A03A150
	v_mfma_f32_16x16x128_f8f6f4 v[184:187], a[88:95], v[192:199], 0// 000000006F5C: D3AD00B8 0A038158
	buffer_load_dwordx4 a[24:27], v41, s[24:27], 0 offen       // 000000006F64: E05C1000 80861829
	buffer_load_dwordx4 a[28:31], v41, s[24:27], 0 offen offset:1024// 000000006F6C: E05C1400 80861C29
	v_mfma_f32_16x16x128_f8f6f4 v[188:191], a[88:95], v[208:215], 0// 000000006F74: D3AD00BC 0A03A158
	s_waitcnt vmcnt(17)                                        // 000000006F7C: BF8C4F71
	v_mov_b32_e32 v28, 0x358637bd                              // 000000006F80: 7E3802FF 358637BD
	v_lshlrev_b32_e32 v50, 16, v232                            // 000000006F88: 2465D090
	v_and_b32_e32 v51, 0xffff0000, v232                        // 000000006F8C: 2667D0FF FFFF0000
	v_max3_f32 v28, |v51|, |v50|, v28                          // 000000006F94: D1D3031C 04726533
	v_lshlrev_b32_e32 v50, 16, v233                            // 000000006F9C: 2465D290
	v_and_b32_e32 v51, 0xffff0000, v233                        // 000000006FA0: 2667D2FF FFFF0000
	v_max3_f32 v28, |v51|, |v50|, v28                          // 000000006FA8: D1D3031C 04726533
	v_lshlrev_b32_e32 v50, 16, v234                            // 000000006FB0: 2465D490
	v_and_b32_e32 v51, 0xffff0000, v234                        // 000000006FB4: 2667D4FF FFFF0000
	v_max3_f32 v28, |v51|, |v50|, v28                          // 000000006FBC: D1D3031C 04726533
	v_lshlrev_b32_e32 v50, 16, v235                            // 000000006FC4: 2465D690
	v_and_b32_e32 v51, 0xffff0000, v235                        // 000000006FC8: 2667D6FF FFFF0000
	v_max3_f32 v28, |v51|, |v50|, v28                          // 000000006FD0: D1D3031C 04726533
	v_lshlrev_b32_e32 v50, 16, v236                            // 000000006FD8: 2465D890
	v_and_b32_e32 v51, 0xffff0000, v236                        // 000000006FDC: 2667D8FF FFFF0000
	v_max3_f32 v28, |v51|, |v50|, v28                          // 000000006FE4: D1D3031C 04726533
	v_lshlrev_b32_e32 v50, 16, v237                            // 000000006FEC: 2465DA90
	v_and_b32_e32 v51, 0xffff0000, v237                        // 000000006FF0: 2667DAFF FFFF0000
	v_max3_f32 v28, |v51|, |v50|, v28                          // 000000006FF8: D1D3031C 04726533
	v_lshlrev_b32_e32 v50, 16, v238                            // 000000007000: 2465DC90
	v_and_b32_e32 v51, 0xffff0000, v238                        // 000000007004: 2667DCFF FFFF0000
	v_max3_f32 v28, |v51|, |v50|, v28                          // 00000000700C: D1D3031C 04726533
	v_lshlrev_b32_e32 v50, 16, v239                            // 000000007014: 2465DE90
	v_and_b32_e32 v51, 0xffff0000, v239                        // 000000007018: 2667DEFF FFFF0000
	v_max3_f32 v28, |v51|, |v50|, v28                          // 000000007020: D1D3031C 04726533
	s_barrier                                                  // 000000007028: BF8A0000
	v_max_f32_dpp v29, v28, v28 quad_perm:[1,2,3,0] row_mask:0xf bank_mask:0xf// 00000000702C: 163A38FA FF00391C
	s_nop 1                                                    // 000000007034: BF800001
	v_max_f32_dpp v50, v29, v29 quad_perm:[2,3,0,1] row_mask:0xf bank_mask:0xf// 000000007038: 16643AFA FF004E1D
	s_nop 1                                                    // 000000007040: BF800001
	v_max_f32_dpp v28, v50, v50 row_half_mirror row_mask:0xf bank_mask:0xf// 000000007044: 163864FA FF014132
	s_mov_b32 s60, 0x43e00000                                  // 00000000704C: BEBC00FF 43E00000
	s_mov_b32 s61, 0x3b124925                                  // 000000007054: BEBD00FF 3B124925
	s_mov_b32 s62, 0xc3e00000                                  // 00000000705C: BEBE00FF C3E00000
	v_rcp_f32_e32 v50, v28                                     // 000000007064: 7E64451C
	v_mul_f32_e32 v32, s61, v28                                // 000000007068: 0A40383D
	v_fma_f32 v51, v32, s62, v28                               // 00000000706C: D1CB0033 04707D20
	v_fma_f32 v32, v51, s61, v32                               // 000000007074: D1CB0020 04807B33
	v_mul_f32_e32 v29, s60, v50                                // 00000000707C: 0A3A643C
	v_xor_b32_e32 v51, 0x80000000, v28                         // 000000007080: 2A6638FF 80000000
	v_fma_f32 v51, v51, v29, s60                               // 000000007088: D1CB0033 00F23B33
	v_fma_f32 v28, v51, v50, v29                               // 000000007090: D1CB001C 04766533
	v_mov_b32_e32 v29, v28                                     // 000000007098: 7E3A031C
	v_lshlrev_b32_e32 v50, 16, v232                            // 00000000709C: 2465D090
	v_and_b32_e32 v51, 0xffff0000, v232                        // 0000000070A0: 2667D0FF FFFF0000
	v_pk_mul_f32 v[50:51], v[50:51], v[28:29]                  // 0000000070A8: D3B14032 18023932
	v_cvt_pk_fp8_f32 v232, v50, v51                            // 0000000070B0: D2A200E8 00026732
	v_lshlrev_b32_e32 v50, 16, v233                            // 0000000070B8: 2465D290
	v_and_b32_e32 v51, 0xffff0000, v233                        // 0000000070BC: 2667D2FF FFFF0000
	v_pk_mul_f32 v[50:51], v[50:51], v[28:29]                  // 0000000070C4: D3B14032 18023932
	v_cvt_pk_fp8_f32 v232, v50, v51 op_sel:[0,0,1]             // 0000000070CC: D2A240E8 00026732
	v_lshlrev_b32_e32 v50, 16, v234                            // 0000000070D4: 2465D490
	v_and_b32_e32 v51, 0xffff0000, v234                        // 0000000070D8: 2667D4FF FFFF0000
	v_pk_mul_f32 v[50:51], v[50:51], v[28:29]                  // 0000000070E0: D3B14032 18023932
	v_cvt_pk_fp8_f32 v233, v50, v51                            // 0000000070E8: D2A200E9 00026732
	v_lshlrev_b32_e32 v50, 16, v235                            // 0000000070F0: 2465D690
	v_and_b32_e32 v51, 0xffff0000, v235                        // 0000000070F4: 2667D6FF FFFF0000
	v_pk_mul_f32 v[50:51], v[50:51], v[28:29]                  // 0000000070FC: D3B14032 18023932
	v_cvt_pk_fp8_f32 v233, v50, v51 op_sel:[0,0,1]             // 000000007104: D2A240E9 00026732
	v_lshlrev_b32_e32 v50, 16, v236                            // 00000000710C: 2465D890
	v_and_b32_e32 v51, 0xffff0000, v236                        // 000000007110: 2667D8FF FFFF0000
	v_pk_mul_f32 v[50:51], v[50:51], v[28:29]                  // 000000007118: D3B14032 18023932
	v_cvt_pk_fp8_f32 v234, v50, v51                            // 000000007120: D2A200EA 00026732
	v_lshlrev_b32_e32 v50, 16, v237                            // 000000007128: 2465DA90
	v_and_b32_e32 v51, 0xffff0000, v237                        // 00000000712C: 2667DAFF FFFF0000
	v_pk_mul_f32 v[50:51], v[50:51], v[28:29]                  // 000000007134: D3B14032 18023932
	v_cvt_pk_fp8_f32 v234, v50, v51 op_sel:[0,0,1]             // 00000000713C: D2A240EA 00026732
	v_lshlrev_b32_e32 v50, 16, v238                            // 000000007144: 2465DC90
	v_and_b32_e32 v51, 0xffff0000, v238                        // 000000007148: 2667DCFF FFFF0000
	v_pk_mul_f32 v[50:51], v[50:51], v[28:29]                  // 000000007150: D3B14032 18023932
	v_cvt_pk_fp8_f32 v235, v50, v51                            // 000000007158: D2A200EB 00026732
	v_lshlrev_b32_e32 v50, 16, v239                            // 000000007160: 2465DE90
	v_and_b32_e32 v51, 0xffff0000, v239                        // 000000007164: 2667DEFF FFFF0000
	v_pk_mul_f32 v[50:51], v[50:51], v[28:29]                  // 00000000716C: D3B14032 18023932
	v_cvt_pk_fp8_f32 v235, v50, v51 op_sel:[0,0,1]             // 000000007174: D2A240EB 00026732
	v_lshlrev_b32_e32 v50, 4, v0                               // 00000000717C: 24640084
	v_add_u32_e64 v50, v50, s51                                // 000000007180: D1340032 00006732
	ds_write_b128 v50, v[232:235] offset:4224                  // 000000007188: D9BE1080 0000E832
	v_add_u32_e32 v50, 0x200, v33                              // 000000007190: 686442FF 00000200
	s_mov_b64 s[60:61], exec                                   // 000000007198: BEBC017E
	s_mov_b32 s62, 0xf0f0f0f                                   // 00000000719C: BEBE00FF 0F0F0F0F
	s_mov_b32 s63, 0xf0f0f0f                                   // 0000000071A4: BEBF00FF 0F0F0F0F
	s_mov_b64 exec, s[62:63]                                   // 0000000071AC: BEFE013E
	ds_write_b32 v50, v32 offset:17920                         // 0000000071B0: D81A4600 00002032
	s_mov_b64 exec, s[60:61]                                   // 0000000071B8: BEFE013C
	v_mul_f32_dpp v50, v24, v15 row_newbcast:0 row_mask:0xf bank_mask:0xf// 0000000071BC: 0A641EFA FF015018
	v_mov_b32_e32 v51, v50                                     // 0000000071C4: 7E660332
	v_pk_fma_f32 v[64:65], v[160:161], v[50:51], v[64:65]      // 0000000071C8: D3B04040 1D0265A0
	v_pk_fma_f32 v[66:67], v[162:163], v[50:51], v[66:67]      // 0000000071D0: D3B04042 1D0A65A2
	v_pk_fma_f32 v[72:73], v[168:169], v[50:51], v[72:73]      // 0000000071D8: D3B04048 1D2265A8
	v_pk_fma_f32 v[74:75], v[170:171], v[50:51], v[74:75]      // 0000000071E0: D3B0404A 1D2A65AA
	v_mul_f32_dpp v50, v24, v15 row_newbcast:1 row_mask:0xf bank_mask:0xf// 0000000071E8: 0A641EFA FF015118
	v_mov_b32_e32 v51, v50                                     // 0000000071F0: 7E660332
	v_pk_fma_f32 v[80:81], v[176:177], v[50:51], v[80:81]      // 0000000071F4: D3B04050 1D4265B0
	v_pk_fma_f32 v[82:83], v[178:179], v[50:51], v[82:83]      // 0000000071FC: D3B04052 1D4A65B2
	v_pk_fma_f32 v[88:89], v[184:185], v[50:51], v[88:89]      // 000000007204: D3B04058 1D6265B8
	v_pk_fma_f32 v[90:91], v[186:187], v[50:51], v[90:91]      // 00000000720C: D3B0405A 1D6A65BA
	v_mul_f32_dpp v50, v24, v16 row_newbcast:0 row_mask:0xf bank_mask:0xf// 000000007214: 0A6420FA FF015018
	v_mov_b32_e32 v51, v50                                     // 00000000721C: 7E660332
	v_pk_fma_f32 v[68:69], v[164:165], v[50:51], v[68:69]      // 000000007220: D3B04044 1D1265A4
	v_pk_fma_f32 v[70:71], v[166:167], v[50:51], v[70:71]      // 000000007228: D3B04046 1D1A65A6
	v_pk_fma_f32 v[76:77], v[172:173], v[50:51], v[76:77]      // 000000007230: D3B0404C 1D3265AC
	v_pk_fma_f32 v[78:79], v[174:175], v[50:51], v[78:79]      // 000000007238: D3B0404E 1D3A65AE
	v_mul_f32_dpp v50, v24, v16 row_newbcast:1 row_mask:0xf bank_mask:0xf// 000000007240: 0A6420FA FF015118
	v_mov_b32_e32 v51, v50                                     // 000000007248: 7E660332
	v_pk_fma_f32 v[84:85], v[180:181], v[50:51], v[84:85]      // 00000000724C: D3B04054 1D5265B4
	v_pk_fma_f32 v[86:87], v[182:183], v[50:51], v[86:87]      // 000000007254: D3B04056 1D5A65B6
	v_pk_fma_f32 v[92:93], v[188:189], v[50:51], v[92:93]      // 00000000725C: D3B0405C 1D7265BC
	v_pk_fma_f32 v[94:95], v[190:191], v[50:51], v[94:95]      // 000000007264: D3B0405E 1D7A65BE
	s_waitcnt vmcnt(13)                                        // 00000000726C: BF8C0F7D
	v_mfma_f32_16x16x128_f8f6f4 v[160:163], a[96:103], v[200:207], 0// 000000007270: D3AD00A0 0A039160
	buffer_load_dwordx4 a[32:35], v38, s[24:27], 0 offen offset:2048// 000000007278: E05C1800 80862026
	buffer_load_dwordx4 a[36:39], v38, s[24:27], 0 offen offset:3072// 000000007280: E05C1C00 80862426
	v_mfma_f32_16x16x128_f8f6f4 v[164:167], a[96:103], v[216:223], 0// 000000007288: D3AD00A4 0A03B160
	s_waitcnt lgkmcnt(0)                                       // 000000007290: BF8CC07F
	s_barrier                                                  // 000000007294: BF8A0000
	ds_read_b128 v[224:227], v2 offset:9472                    // 000000007298: D9FE2500 E0000002
	ds_read_b128 v[228:231], v2 offset:9536                    // 0000000072A0: D9FE2540 E4000002
	ds_read_b32 v19, v3 offset:17920                           // 0000000072A8: D86C4600 13000003
	v_mfma_f32_16x16x128_f8f6f4 v[168:171], a[104:111], v[200:207], 0// 0000000072B0: D3AD00A8 0A039168
	buffer_load_dwordx4 a[40:43], v39, s[24:27], 0 offen offset:2048// 0000000072B8: E05C1800 80862827
	buffer_load_dwordx4 a[44:47], v39, s[24:27], 0 offen offset:3072// 0000000072C0: E05C1C00 80862C27
	v_mfma_f32_16x16x128_f8f6f4 v[172:175], a[104:111], v[216:223], 0// 0000000072C8: D3AD00AC 0A03B168
	ds_read_b128 v[232:235], v2 offset:13696                   // 0000000072D0: D9FE3580 E8000002
	ds_read_b128 v[236:239], v2 offset:13760                   // 0000000072D8: D9FE35C0 EC000002
	ds_read_b32 v20, v3 offset:18176                           // 0000000072E0: D86C4700 14000003
	s_waitcnt vmcnt(13)                                        // 0000000072E8: BF8C0F7D
	v_mfma_f32_16x16x128_f8f6f4 v[176:179], a[112:119], v[200:207], 0// 0000000072EC: D3AD00B0 0A039170
	buffer_load_dwordx4 a[48:51], v40, s[24:27], 0 offen offset:2048// 0000000072F4: E05C1800 80863028
	buffer_load_dwordx4 a[52:55], v40, s[24:27], 0 offen offset:3072// 0000000072FC: E05C1C00 80863428
	v_mfma_f32_16x16x128_f8f6f4 v[180:183], a[112:119], v[216:223], 0// 000000007304: D3AD00B4 0A03B170
	ds_read_b128 v[240:243], v2 offset:9984                    // 00000000730C: D9FE2700 F0000002
	ds_read_b128 v[244:247], v2 offset:10048                   // 000000007314: D9FE2740 F4000002
	ds_read_b32 v21, v3 offset:18432                           // 00000000731C: D86C4800 15000003
	v_mfma_f32_16x16x128_f8f6f4 v[184:187], a[120:127], v[200:207], 0// 000000007324: D3AD00B8 0A039178
	buffer_load_dwordx4 a[56:59], v41, s[24:27], 0 offen offset:2048// 00000000732C: E05C1800 80863829
	buffer_load_dwordx4 a[60:63], v41, s[24:27], 0 offen offset:3072// 000000007334: E05C1C00 80863C29
	v_mfma_f32_16x16x128_f8f6f4 v[188:191], a[120:127], v[216:223], 0// 00000000733C: D3AD00BC 0A03B178
	ds_read_b128 v[248:251], v2 offset:14208                   // 000000007344: D9FE3780 F8000002
	ds_read_b128 v[252:255], v2 offset:14272                   // 00000000734C: D9FE37C0 FC000002
	ds_read_b32 v22, v3 offset:18688                           // 000000007354: D86C4900 16000003
	v_mul_f32_dpp v50, v24, v17 row_newbcast:2 row_mask:0xf bank_mask:0xf// 00000000735C: 0A6422FA FF015218
	v_mov_b32_e32 v51, v50                                     // 000000007364: 7E660332
	v_pk_fma_f32 v[64:65], v[160:161], v[50:51], v[64:65]      // 000000007368: D3B04040 1D0265A0
	v_pk_fma_f32 v[66:67], v[162:163], v[50:51], v[66:67]      // 000000007370: D3B04042 1D0A65A2
	v_pk_fma_f32 v[72:73], v[168:169], v[50:51], v[72:73]      // 000000007378: D3B04048 1D2265A8
	v_pk_fma_f32 v[74:75], v[170:171], v[50:51], v[74:75]      // 000000007380: D3B0404A 1D2A65AA
	v_mul_f32_dpp v50, v24, v17 row_newbcast:3 row_mask:0xf bank_mask:0xf// 000000007388: 0A6422FA FF015318
	v_mov_b32_e32 v51, v50                                     // 000000007390: 7E660332
	v_pk_fma_f32 v[80:81], v[176:177], v[50:51], v[80:81]      // 000000007394: D3B04050 1D4265B0
	v_pk_fma_f32 v[82:83], v[178:179], v[50:51], v[82:83]      // 00000000739C: D3B04052 1D4A65B2
	v_pk_fma_f32 v[88:89], v[184:185], v[50:51], v[88:89]      // 0000000073A4: D3B04058 1D6265B8
	v_pk_fma_f32 v[90:91], v[186:187], v[50:51], v[90:91]      // 0000000073AC: D3B0405A 1D6A65BA
	v_mul_f32_dpp v50, v24, v18 row_newbcast:2 row_mask:0xf bank_mask:0xf// 0000000073B4: 0A6424FA FF015218
	v_mov_b32_e32 v51, v50                                     // 0000000073BC: 7E660332
	v_pk_fma_f32 v[68:69], v[164:165], v[50:51], v[68:69]      // 0000000073C0: D3B04044 1D1265A4
	v_pk_fma_f32 v[70:71], v[166:167], v[50:51], v[70:71]      // 0000000073C8: D3B04046 1D1A65A6
	v_pk_fma_f32 v[76:77], v[172:173], v[50:51], v[76:77]      // 0000000073D0: D3B0404C 1D3265AC
	v_pk_fma_f32 v[78:79], v[174:175], v[50:51], v[78:79]      // 0000000073D8: D3B0404E 1D3A65AE
	v_mul_f32_dpp v50, v24, v18 row_newbcast:3 row_mask:0xf bank_mask:0xf// 0000000073E0: 0A6424FA FF015318
	v_mov_b32_e32 v51, v50                                     // 0000000073E8: 7E660332
	v_pk_fma_f32 v[84:85], v[180:181], v[50:51], v[84:85]      // 0000000073EC: D3B04054 1D5265B4
	v_pk_fma_f32 v[86:87], v[182:183], v[50:51], v[86:87]      // 0000000073F4: D3B04056 1D5A65B6
	v_pk_fma_f32 v[92:93], v[188:189], v[50:51], v[92:93]      // 0000000073FC: D3B0405C 1D7265BC
	v_pk_fma_f32 v[94:95], v[190:191], v[50:51], v[94:95]      // 000000007404: D3B0405E 1D7A65BE
	s_add_u32 s60, 0x200, s80                                  // 00000000740C: 803C50FF 00000200
	s_cmp_lt_u32 s60, s81                                      // 000000007414: BF0A513C
	s_cselect_b32 s57, s57, 0                                  // 000000007418: 85398039
	s_add_u32 s60, 0x200, s80                                  // 00000000741C: 803C50FF 00000200
	s_cmp_lt_u32 s60, s81                                      // 000000007424: BF0A513C
	s_cselect_b32 s58, s58, 0                                  // 000000007428: 853A803A
	s_add_u32 s20, s57, s20                                    // 00000000742C: 80141439
	s_addc_u32 s21, 0, s21                                     // 000000007430: 82151580
	s_add_u32 s24, s58, s24                                    // 000000007434: 8018183A
	s_addc_u32 s25, 0, s25                                     // 000000007438: 82191980
	s_add_u32 s92, s90, s92                                    // 00000000743C: 805C5C5A
	s_addc_u32 s93, 0, s93                                     // 000000007440: 825D5D80
	s_addk_i32 s80, 0x100                                      // 000000007444: B7500100
	s_cmp_lt_i32 s80, s81                                      // 000000007448: BF045150
	s_cbranch_scc0 label_142B                                  // 00000000744C: BF840297
	s_waitcnt vmcnt(12) lgkmcnt(0)                             // 000000007450: BF8C007C
	s_barrier                                                  // 000000007454: BF8A0000
	v_mfma_f32_16x16x128_f8f6f4 v[160:163], a[0:7], v[224:231], 0// 000000007458: D3AD00A0 0A03C100
	buffer_load_dword v24, v13, s[32:35], 0 offen              // 000000007460: E0501000 8008180D
	buffer_load_dwordx4 a[64:67], v38, s[92:95], 0 offen       // 000000007468: E05C1000 80974026
	buffer_load_dwordx4 a[68:71], v38, s[92:95], 0 offen offset:1024// 000000007470: E05C1400 80974426
	v_mfma_f32_16x16x128_f8f6f4 v[164:167], a[0:7], v[240:247], 0// 000000007478: D3AD00A4 0A03E100
	v_mfma_f32_16x16x128_f8f6f4 v[168:171], a[8:15], v[224:231], 0// 000000007480: D3AD00A8 0A03C108
	buffer_load_dwordx4 a[72:75], v39, s[92:95], 0 offen       // 000000007488: E05C1000 80974827
	buffer_load_dwordx4 a[76:79], v39, s[92:95], 0 offen offset:1024// 000000007490: E05C1400 80974C27
	buffer_load_dwordx4 v[192:195], v36, s[20:23], 0 offen     // 000000007498: E05C1000 8005C024
	buffer_load_dwordx4 v[196:199], v36, s[20:23], 0 offen offset:16// 0000000074A0: E05C1010 8005C424
	buffer_load_dwordx4 v[200:203], v37, s[20:23], 0 offen     // 0000000074A8: E05C1000 8005C825
	buffer_load_dwordx4 v[204:207], v37, s[20:23], 0 offen offset:16// 0000000074B0: E05C1010 8005CC25
	v_mfma_f32_16x16x128_f8f6f4 v[172:175], a[8:15], v[240:247], 0// 0000000074B8: D3AD00AC 0A03E108
	s_waitcnt vmcnt(17)                                        // 0000000074C0: BF8C4F71
	v_mfma_f32_16x16x128_f8f6f4 v[176:179], a[16:23], v[224:231], 0// 0000000074C4: D3AD00B0 0A03C110
	buffer_load_dwordx4 a[80:83], v40, s[92:95], 0 offen       // 0000000074CC: E05C1000 80975028
	buffer_load_dwordx4 a[84:87], v40, s[92:95], 0 offen offset:1024// 0000000074D4: E05C1400 80975428
	v_mfma_f32_16x16x128_f8f6f4 v[180:183], a[16:23], v[240:247], 0// 0000000074DC: D3AD00B4 0A03E110
	v_mfma_f32_16x16x128_f8f6f4 v[184:187], a[24:31], v[224:231], 0// 0000000074E4: D3AD00B8 0A03C118
	buffer_load_dwordx4 a[88:91], v41, s[92:95], 0 offen       // 0000000074EC: E05C1000 80975829
	buffer_load_dwordx4 a[92:95], v41, s[92:95], 0 offen offset:1024// 0000000074F4: E05C1400 80975C29
	v_mfma_f32_16x16x128_f8f6f4 v[188:191], a[24:31], v[240:247], 0// 0000000074FC: D3AD00BC 0A03E118
	v_mul_f32_dpp v50, v23, v19 row_newbcast:0 row_mask:0xf bank_mask:0xf// 000000007504: 0A6426FA FF015017
	v_mov_b32_e32 v51, v50                                     // 00000000750C: 7E660332
	v_pk_fma_f32 v[128:129], v[160:161], v[50:51], v[128:129]  // 000000007510: D3B04080 1E0265A0
	v_pk_fma_f32 v[130:131], v[162:163], v[50:51], v[130:131]  // 000000007518: D3B04082 1E0A65A2
	v_pk_fma_f32 v[136:137], v[168:169], v[50:51], v[136:137]  // 000000007520: D3B04088 1E2265A8
	v_pk_fma_f32 v[138:139], v[170:171], v[50:51], v[138:139]  // 000000007528: D3B0408A 1E2A65AA
	v_mul_f32_dpp v50, v23, v19 row_newbcast:1 row_mask:0xf bank_mask:0xf// 000000007530: 0A6426FA FF015117
	v_mov_b32_e32 v51, v50                                     // 000000007538: 7E660332
	v_pk_fma_f32 v[144:145], v[176:177], v[50:51], v[144:145]  // 00000000753C: D3B04090 1E4265B0
	v_pk_fma_f32 v[146:147], v[178:179], v[50:51], v[146:147]  // 000000007544: D3B04092 1E4A65B2
	v_pk_fma_f32 v[152:153], v[184:185], v[50:51], v[152:153]  // 00000000754C: D3B04098 1E6265B8
	v_pk_fma_f32 v[154:155], v[186:187], v[50:51], v[154:155]  // 000000007554: D3B0409A 1E6A65BA
	v_mul_f32_dpp v50, v23, v20 row_newbcast:0 row_mask:0xf bank_mask:0xf// 00000000755C: 0A6428FA FF015017
	v_mov_b32_e32 v51, v50                                     // 000000007564: 7E660332
	v_pk_fma_f32 v[132:133], v[164:165], v[50:51], v[132:133]  // 000000007568: D3B04084 1E1265A4
	v_pk_fma_f32 v[134:135], v[166:167], v[50:51], v[134:135]  // 000000007570: D3B04086 1E1A65A6
	v_pk_fma_f32 v[140:141], v[172:173], v[50:51], v[140:141]  // 000000007578: D3B0408C 1E3265AC
	v_pk_fma_f32 v[142:143], v[174:175], v[50:51], v[142:143]  // 000000007580: D3B0408E 1E3A65AE
	v_mul_f32_dpp v50, v23, v20 row_newbcast:1 row_mask:0xf bank_mask:0xf// 000000007588: 0A6428FA FF015117
	v_mov_b32_e32 v51, v50                                     // 000000007590: 7E660332
	v_pk_fma_f32 v[148:149], v[180:181], v[50:51], v[148:149]  // 000000007594: D3B04094 1E5265B4
	v_pk_fma_f32 v[150:151], v[182:183], v[50:51], v[150:151]  // 00000000759C: D3B04096 1E5A65B6
	v_pk_fma_f32 v[156:157], v[188:189], v[50:51], v[156:157]  // 0000000075A4: D3B0409C 1E7265BC
	v_pk_fma_f32 v[158:159], v[190:191], v[50:51], v[158:159]  // 0000000075AC: D3B0409E 1E7A65BE
	s_waitcnt vmcnt(17)                                        // 0000000075B4: BF8C4F71
	v_mfma_f32_16x16x128_f8f6f4 v[160:163], a[32:39], v[232:239], 0// 0000000075B8: D3AD00A0 0A03D120
	buffer_load_dwordx4 a[96:99], v38, s[92:95], 0 offen offset:2048// 0000000075C0: E05C1800 80976026
	buffer_load_dwordx4 a[100:103], v38, s[92:95], 0 offen offset:3072// 0000000075C8: E05C1C00 80976426
	v_mfma_f32_16x16x128_f8f6f4 v[164:167], a[32:39], v[248:255], 0// 0000000075D0: D3AD00A4 0A03F120
	v_mfma_f32_16x16x128_f8f6f4 v[168:171], a[40:47], v[232:239], 0// 0000000075D8: D3AD00A8 0A03D128
	buffer_load_dwordx4 a[104:107], v39, s[92:95], 0 offen offset:2048// 0000000075E0: E05C1800 80976827
	buffer_load_dwordx4 a[108:111], v39, s[92:95], 0 offen offset:3072// 0000000075E8: E05C1C00 80976C27
	v_mfma_f32_16x16x128_f8f6f4 v[172:175], a[40:47], v[248:255], 0// 0000000075F0: D3AD00AC 0A03F128
	s_waitcnt vmcnt(17)                                        // 0000000075F8: BF8C4F71
	v_mfma_f32_16x16x128_f8f6f4 v[176:179], a[48:55], v[232:239], 0// 0000000075FC: D3AD00B0 0A03D130
	buffer_load_dwordx4 a[112:115], v40, s[92:95], 0 offen offset:2048// 000000007604: E05C1800 80977028
	buffer_load_dwordx4 a[116:119], v40, s[92:95], 0 offen offset:3072// 00000000760C: E05C1C00 80977428
	v_mfma_f32_16x16x128_f8f6f4 v[180:183], a[48:55], v[248:255], 0// 000000007614: D3AD00B4 0A03F130
	v_mfma_f32_16x16x128_f8f6f4 v[184:187], a[56:63], v[232:239], 0// 00000000761C: D3AD00B8 0A03D138
	buffer_load_dwordx4 a[120:123], v41, s[92:95], 0 offen offset:2048// 000000007624: E05C1800 80977829
	buffer_load_dwordx4 a[124:127], v41, s[92:95], 0 offen offset:3072// 00000000762C: E05C1C00 80977C29
	v_mfma_f32_16x16x128_f8f6f4 v[188:191], a[56:63], v[248:255], 0// 000000007634: D3AD00BC 0A03F138
	v_mul_f32_dpp v50, v23, v21 row_newbcast:2 row_mask:0xf bank_mask:0xf// 00000000763C: 0A642AFA FF015217
	v_mov_b32_e32 v51, v50                                     // 000000007644: 7E660332
	v_pk_fma_f32 v[128:129], v[160:161], v[50:51], v[128:129]  // 000000007648: D3B04080 1E0265A0
	v_pk_fma_f32 v[130:131], v[162:163], v[50:51], v[130:131]  // 000000007650: D3B04082 1E0A65A2
	v_pk_fma_f32 v[136:137], v[168:169], v[50:51], v[136:137]  // 000000007658: D3B04088 1E2265A8
	v_pk_fma_f32 v[138:139], v[170:171], v[50:51], v[138:139]  // 000000007660: D3B0408A 1E2A65AA
	v_mul_f32_dpp v50, v23, v21 row_newbcast:3 row_mask:0xf bank_mask:0xf// 000000007668: 0A642AFA FF015317
	v_mov_b32_e32 v51, v50                                     // 000000007670: 7E660332
	v_pk_fma_f32 v[144:145], v[176:177], v[50:51], v[144:145]  // 000000007674: D3B04090 1E4265B0
	v_pk_fma_f32 v[146:147], v[178:179], v[50:51], v[146:147]  // 00000000767C: D3B04092 1E4A65B2
	v_pk_fma_f32 v[152:153], v[184:185], v[50:51], v[152:153]  // 000000007684: D3B04098 1E6265B8
	v_pk_fma_f32 v[154:155], v[186:187], v[50:51], v[154:155]  // 00000000768C: D3B0409A 1E6A65BA
	v_mul_f32_dpp v50, v23, v22 row_newbcast:2 row_mask:0xf bank_mask:0xf// 000000007694: 0A642CFA FF015217
	v_mov_b32_e32 v51, v50                                     // 00000000769C: 7E660332
	v_pk_fma_f32 v[132:133], v[164:165], v[50:51], v[132:133]  // 0000000076A0: D3B04084 1E1265A4
	v_pk_fma_f32 v[134:135], v[166:167], v[50:51], v[134:135]  // 0000000076A8: D3B04086 1E1A65A6
	v_pk_fma_f32 v[140:141], v[172:173], v[50:51], v[140:141]  // 0000000076B0: D3B0408C 1E3265AC
	v_pk_fma_f32 v[142:143], v[174:175], v[50:51], v[142:143]  // 0000000076B8: D3B0408E 1E3A65AE
	v_mul_f32_dpp v50, v23, v22 row_newbcast:3 row_mask:0xf bank_mask:0xf// 0000000076C0: 0A642CFA FF015317
	v_mov_b32_e32 v51, v50                                     // 0000000076C8: 7E660332
	v_pk_fma_f32 v[148:149], v[180:181], v[50:51], v[148:149]  // 0000000076CC: D3B04094 1E5265B4
	v_pk_fma_f32 v[150:151], v[182:183], v[50:51], v[150:151]  // 0000000076D4: D3B04096 1E5A65B6
	v_pk_fma_f32 v[156:157], v[188:189], v[50:51], v[156:157]  // 0000000076DC: D3B0409C 1E7265BC
	v_pk_fma_f32 v[158:159], v[190:191], v[50:51], v[158:159]  // 0000000076E4: D3B0409E 1E7A65BE
	s_waitcnt vmcnt(10)                                        // 0000000076EC: BF8C0F7A
	v_mov_b32_e32 v28, 0x358637bd                              // 0000000076F0: 7E3802FF 358637BD
	v_lshlrev_b32_e32 v50, 16, v192                            // 0000000076F8: 24658090
	v_and_b32_e32 v51, 0xffff0000, v192                        // 0000000076FC: 266780FF FFFF0000
	v_max3_f32 v28, |v51|, |v50|, v28                          // 000000007704: D1D3031C 04726533
	v_lshlrev_b32_e32 v50, 16, v193                            // 00000000770C: 24658290
	v_and_b32_e32 v51, 0xffff0000, v193                        // 000000007710: 266782FF FFFF0000
	v_max3_f32 v28, |v51|, |v50|, v28                          // 000000007718: D1D3031C 04726533
	v_lshlrev_b32_e32 v50, 16, v194                            // 000000007720: 24658490
	v_and_b32_e32 v51, 0xffff0000, v194                        // 000000007724: 266784FF FFFF0000
	v_max3_f32 v28, |v51|, |v50|, v28                          // 00000000772C: D1D3031C 04726533
	v_lshlrev_b32_e32 v50, 16, v195                            // 000000007734: 24658690
	v_and_b32_e32 v51, 0xffff0000, v195                        // 000000007738: 266786FF FFFF0000
	v_max3_f32 v28, |v51|, |v50|, v28                          // 000000007740: D1D3031C 04726533
	v_lshlrev_b32_e32 v50, 16, v196                            // 000000007748: 24658890
	v_and_b32_e32 v51, 0xffff0000, v196                        // 00000000774C: 266788FF FFFF0000
	v_max3_f32 v28, |v51|, |v50|, v28                          // 000000007754: D1D3031C 04726533
	v_lshlrev_b32_e32 v50, 16, v197                            // 00000000775C: 24658A90
	v_and_b32_e32 v51, 0xffff0000, v197                        // 000000007760: 26678AFF FFFF0000
	v_max3_f32 v28, |v51|, |v50|, v28                          // 000000007768: D1D3031C 04726533
	v_lshlrev_b32_e32 v50, 16, v198                            // 000000007770: 24658C90
	v_and_b32_e32 v51, 0xffff0000, v198                        // 000000007774: 26678CFF FFFF0000
	v_max3_f32 v28, |v51|, |v50|, v28                          // 00000000777C: D1D3031C 04726533
	v_lshlrev_b32_e32 v50, 16, v199                            // 000000007784: 24658E90
	v_and_b32_e32 v51, 0xffff0000, v199                        // 000000007788: 26678EFF FFFF0000
	v_max3_f32 v28, |v51|, |v50|, v28                          // 000000007790: D1D3031C 04726533
	s_barrier                                                  // 000000007798: BF8A0000
	v_max_f32_dpp v29, v28, v28 quad_perm:[1,2,3,0] row_mask:0xf bank_mask:0xf// 00000000779C: 163A38FA FF00391C
	s_nop 1                                                    // 0000000077A4: BF800001
	v_max_f32_dpp v50, v29, v29 quad_perm:[2,3,0,1] row_mask:0xf bank_mask:0xf// 0000000077A8: 16643AFA FF004E1D
	s_nop 1                                                    // 0000000077B0: BF800001
	v_max_f32_dpp v28, v50, v50 row_half_mirror row_mask:0xf bank_mask:0xf// 0000000077B4: 163864FA FF014132
	s_mov_b32 s60, 0x43e00000                                  // 0000000077BC: BEBC00FF 43E00000
	s_mov_b32 s61, 0x3b124925                                  // 0000000077C4: BEBD00FF 3B124925
	s_mov_b32 s62, 0xc3e00000                                  // 0000000077CC: BEBE00FF C3E00000
	v_rcp_f32_e32 v50, v28                                     // 0000000077D4: 7E64451C
	v_mul_f32_e32 v32, s61, v28                                // 0000000077D8: 0A40383D
	v_fma_f32 v51, v32, s62, v28                               // 0000000077DC: D1CB0033 04707D20
	v_fma_f32 v32, v51, s61, v32                               // 0000000077E4: D1CB0020 04807B33
	v_mul_f32_e32 v29, s60, v50                                // 0000000077EC: 0A3A643C
	v_xor_b32_e32 v51, 0x80000000, v28                         // 0000000077F0: 2A6638FF 80000000
	v_fma_f32 v51, v51, v29, s60                               // 0000000077F8: D1CB0033 00F23B33
	v_fma_f32 v28, v51, v50, v29                               // 000000007800: D1CB001C 04766533
	v_mov_b32_e32 v29, v28                                     // 000000007808: 7E3A031C
	v_lshlrev_b32_e32 v50, 16, v192                            // 00000000780C: 24658090
	v_and_b32_e32 v51, 0xffff0000, v192                        // 000000007810: 266780FF FFFF0000
	v_pk_mul_f32 v[50:51], v[50:51], v[28:29]                  // 000000007818: D3B14032 18023932
	v_cvt_pk_fp8_f32 v192, v50, v51                            // 000000007820: D2A200C0 00026732
	v_lshlrev_b32_e32 v50, 16, v193                            // 000000007828: 24658290
	v_and_b32_e32 v51, 0xffff0000, v193                        // 00000000782C: 266782FF FFFF0000
	v_pk_mul_f32 v[50:51], v[50:51], v[28:29]                  // 000000007834: D3B14032 18023932
	v_cvt_pk_fp8_f32 v192, v50, v51 op_sel:[0,0,1]             // 00000000783C: D2A240C0 00026732
	v_lshlrev_b32_e32 v50, 16, v194                            // 000000007844: 24658490
	v_and_b32_e32 v51, 0xffff0000, v194                        // 000000007848: 266784FF FFFF0000
	v_pk_mul_f32 v[50:51], v[50:51], v[28:29]                  // 000000007850: D3B14032 18023932
	v_cvt_pk_fp8_f32 v193, v50, v51                            // 000000007858: D2A200C1 00026732
	v_lshlrev_b32_e32 v50, 16, v195                            // 000000007860: 24658690
	v_and_b32_e32 v51, 0xffff0000, v195                        // 000000007864: 266786FF FFFF0000
	v_pk_mul_f32 v[50:51], v[50:51], v[28:29]                  // 00000000786C: D3B14032 18023932
	v_cvt_pk_fp8_f32 v193, v50, v51 op_sel:[0,0,1]             // 000000007874: D2A240C1 00026732
	v_lshlrev_b32_e32 v50, 16, v196                            // 00000000787C: 24658890
	v_and_b32_e32 v51, 0xffff0000, v196                        // 000000007880: 266788FF FFFF0000
	v_pk_mul_f32 v[50:51], v[50:51], v[28:29]                  // 000000007888: D3B14032 18023932
	v_cvt_pk_fp8_f32 v194, v50, v51                            // 000000007890: D2A200C2 00026732
	v_lshlrev_b32_e32 v50, 16, v197                            // 000000007898: 24658A90
	v_and_b32_e32 v51, 0xffff0000, v197                        // 00000000789C: 26678AFF FFFF0000
	v_pk_mul_f32 v[50:51], v[50:51], v[28:29]                  // 0000000078A4: D3B14032 18023932
	v_cvt_pk_fp8_f32 v194, v50, v51 op_sel:[0,0,1]             // 0000000078AC: D2A240C2 00026732
	v_lshlrev_b32_e32 v50, 16, v198                            // 0000000078B4: 24658C90
	v_and_b32_e32 v51, 0xffff0000, v198                        // 0000000078B8: 26678CFF FFFF0000
	v_pk_mul_f32 v[50:51], v[50:51], v[28:29]                  // 0000000078C0: D3B14032 18023932
	v_cvt_pk_fp8_f32 v195, v50, v51                            // 0000000078C8: D2A200C3 00026732
	v_lshlrev_b32_e32 v50, 16, v199                            // 0000000078D0: 24658E90
	v_and_b32_e32 v51, 0xffff0000, v199                        // 0000000078D4: 26678EFF FFFF0000
	v_pk_mul_f32 v[50:51], v[50:51], v[28:29]                  // 0000000078DC: D3B14032 18023932
	v_cvt_pk_fp8_f32 v195, v50, v51 op_sel:[0,0,1]             // 0000000078E4: D2A240C3 00026732
	v_lshlrev_b32_e32 v50, 4, v0                               // 0000000078EC: 24640084
	v_add_u32_e64 v50, v50, s50                                // 0000000078F0: D1340032 00006532
	ds_write_b128 v50, v[192:195]                              // 0000000078F8: D9BE0000 0000C032
	v_add_u32_e32 v50, 0, v33                                  // 000000007900: 68644280
	s_mov_b64 s[60:61], exec                                   // 000000007904: BEBC017E
	s_mov_b32 s62, 0xf0f0f0f                                   // 000000007908: BEBE00FF 0F0F0F0F
	s_mov_b32 s63, 0xf0f0f0f                                   // 000000007910: BEBF00FF 0F0F0F0F
	s_mov_b64 exec, s[62:63]                                   // 000000007918: BEFE013E
	ds_write_b32 v50, v32 offset:8448                          // 00000000791C: D81A2100 00002032
	s_mov_b64 exec, s[60:61]                                   // 000000007924: BEFE013C
	s_add_u32 s60, 0x100, s80                                  // 000000007928: 803C50FF 00000100
	s_cmp_lt_u32 s60, s81                                      // 000000007930: BF0A513C
	s_cselect_b32 s4, s4, 0                                    // 000000007934: 85048004
	s_add_u32 s32, s4, s32                                     // 000000007938: 80202004
	s_addc_u32 s33, 0, s33                                     // 00000000793C: 82212180
	s_waitcnt vmcnt(16)                                        // 000000007940: BF8C4F70
	s_barrier                                                  // 000000007944: BF8A0000
	v_mfma_f32_16x16x128_f8f6f4 v[160:163], a[64:71], v[224:231], 0// 000000007948: D3AD00A0 0A03C140
	buffer_load_dword v23, v11, s[32:35], 0 offen              // 000000007950: E0501000 8008170B
	buffer_load_dwordx4 a[0:3], v38, s[24:27], 0 offen         // 000000007958: E05C1000 80860026
	buffer_load_dwordx4 a[4:7], v38, s[24:27], 0 offen offset:1024// 000000007960: E05C1400 80860426
	v_mfma_f32_16x16x128_f8f6f4 v[164:167], a[64:71], v[240:247], 0// 000000007968: D3AD00A4 0A03E140
	v_mfma_f32_16x16x128_f8f6f4 v[168:171], a[72:79], v[224:231], 0// 000000007970: D3AD00A8 0A03C148
	buffer_load_dwordx4 a[8:11], v39, s[24:27], 0 offen        // 000000007978: E05C1000 80860827
	buffer_load_dwordx4 a[12:15], v39, s[24:27], 0 offen offset:1024// 000000007980: E05C1400 80860C27
	v_mfma_f32_16x16x128_f8f6f4 v[172:175], a[72:79], v[240:247], 0// 000000007988: D3AD00AC 0A03E148
	s_waitcnt vmcnt(13)                                        // 000000007990: BF8C0F7D
	v_mfma_f32_16x16x128_f8f6f4 v[176:179], a[80:87], v[224:231], 0// 000000007994: D3AD00B0 0A03C150
	buffer_load_dwordx4 a[16:19], v40, s[24:27], 0 offen       // 00000000799C: E05C1000 80861028
	buffer_load_dwordx4 a[20:23], v40, s[24:27], 0 offen offset:1024// 0000000079A4: E05C1400 80861428
	v_mfma_f32_16x16x128_f8f6f4 v[180:183], a[80:87], v[240:247], 0// 0000000079AC: D3AD00B4 0A03E150
	v_mfma_f32_16x16x128_f8f6f4 v[184:187], a[88:95], v[224:231], 0// 0000000079B4: D3AD00B8 0A03C158
	buffer_load_dwordx4 a[24:27], v41, s[24:27], 0 offen       // 0000000079BC: E05C1000 80861829
	buffer_load_dwordx4 a[28:31], v41, s[24:27], 0 offen offset:1024// 0000000079C4: E05C1400 80861C29
	v_mfma_f32_16x16x128_f8f6f4 v[188:191], a[88:95], v[240:247], 0// 0000000079CC: D3AD00BC 0A03E158
	s_waitcnt vmcnt(17)                                        // 0000000079D4: BF8C4F71
	v_mov_b32_e32 v28, 0x358637bd                              // 0000000079D8: 7E3802FF 358637BD
	v_lshlrev_b32_e32 v50, 16, v200                            // 0000000079E0: 24659090
	v_and_b32_e32 v51, 0xffff0000, v200                        // 0000000079E4: 266790FF FFFF0000
	v_max3_f32 v28, |v51|, |v50|, v28                          // 0000000079EC: D1D3031C 04726533
	v_lshlrev_b32_e32 v50, 16, v201                            // 0000000079F4: 24659290
	v_and_b32_e32 v51, 0xffff0000, v201                        // 0000000079F8: 266792FF FFFF0000
	v_max3_f32 v28, |v51|, |v50|, v28                          // 000000007A00: D1D3031C 04726533
	v_lshlrev_b32_e32 v50, 16, v202                            // 000000007A08: 24659490
	v_and_b32_e32 v51, 0xffff0000, v202                        // 000000007A0C: 266794FF FFFF0000
	v_max3_f32 v28, |v51|, |v50|, v28                          // 000000007A14: D1D3031C 04726533
	v_lshlrev_b32_e32 v50, 16, v203                            // 000000007A1C: 24659690
	v_and_b32_e32 v51, 0xffff0000, v203                        // 000000007A20: 266796FF FFFF0000
	v_max3_f32 v28, |v51|, |v50|, v28                          // 000000007A28: D1D3031C 04726533
	v_lshlrev_b32_e32 v50, 16, v204                            // 000000007A30: 24659890
	v_and_b32_e32 v51, 0xffff0000, v204                        // 000000007A34: 266798FF FFFF0000
	v_max3_f32 v28, |v51|, |v50|, v28                          // 000000007A3C: D1D3031C 04726533
	v_lshlrev_b32_e32 v50, 16, v205                            // 000000007A44: 24659A90
	v_and_b32_e32 v51, 0xffff0000, v205                        // 000000007A48: 26679AFF FFFF0000
	v_max3_f32 v28, |v51|, |v50|, v28                          // 000000007A50: D1D3031C 04726533
	v_lshlrev_b32_e32 v50, 16, v206                            // 000000007A58: 24659C90
	v_and_b32_e32 v51, 0xffff0000, v206                        // 000000007A5C: 26679CFF FFFF0000
	v_max3_f32 v28, |v51|, |v50|, v28                          // 000000007A64: D1D3031C 04726533
	v_lshlrev_b32_e32 v50, 16, v207                            // 000000007A6C: 24659E90
	v_and_b32_e32 v51, 0xffff0000, v207                        // 000000007A70: 26679EFF FFFF0000
	v_max3_f32 v28, |v51|, |v50|, v28                          // 000000007A78: D1D3031C 04726533
	s_barrier                                                  // 000000007A80: BF8A0000
	v_max_f32_dpp v29, v28, v28 quad_perm:[1,2,3,0] row_mask:0xf bank_mask:0xf// 000000007A84: 163A38FA FF00391C
	s_nop 1                                                    // 000000007A8C: BF800001
	v_max_f32_dpp v50, v29, v29 quad_perm:[2,3,0,1] row_mask:0xf bank_mask:0xf// 000000007A90: 16643AFA FF004E1D
	s_nop 1                                                    // 000000007A98: BF800001
	v_max_f32_dpp v28, v50, v50 row_half_mirror row_mask:0xf bank_mask:0xf// 000000007A9C: 163864FA FF014132
	s_mov_b32 s60, 0x43e00000                                  // 000000007AA4: BEBC00FF 43E00000
	s_mov_b32 s61, 0x3b124925                                  // 000000007AAC: BEBD00FF 3B124925
	s_mov_b32 s62, 0xc3e00000                                  // 000000007AB4: BEBE00FF C3E00000
	v_rcp_f32_e32 v50, v28                                     // 000000007ABC: 7E64451C
	v_mul_f32_e32 v32, s61, v28                                // 000000007AC0: 0A40383D
	v_fma_f32 v51, v32, s62, v28                               // 000000007AC4: D1CB0033 04707D20
	v_fma_f32 v32, v51, s61, v32                               // 000000007ACC: D1CB0020 04807B33
	v_mul_f32_e32 v29, s60, v50                                // 000000007AD4: 0A3A643C
	v_xor_b32_e32 v51, 0x80000000, v28                         // 000000007AD8: 2A6638FF 80000000
	v_fma_f32 v51, v51, v29, s60                               // 000000007AE0: D1CB0033 00F23B33
	v_fma_f32 v28, v51, v50, v29                               // 000000007AE8: D1CB001C 04766533
	v_mov_b32_e32 v29, v28                                     // 000000007AF0: 7E3A031C
	v_lshlrev_b32_e32 v50, 16, v200                            // 000000007AF4: 24659090
	v_and_b32_e32 v51, 0xffff0000, v200                        // 000000007AF8: 266790FF FFFF0000
	v_pk_mul_f32 v[50:51], v[50:51], v[28:29]                  // 000000007B00: D3B14032 18023932
	v_cvt_pk_fp8_f32 v200, v50, v51                            // 000000007B08: D2A200C8 00026732
	v_lshlrev_b32_e32 v50, 16, v201                            // 000000007B10: 24659290
	v_and_b32_e32 v51, 0xffff0000, v201                        // 000000007B14: 266792FF FFFF0000
	v_pk_mul_f32 v[50:51], v[50:51], v[28:29]                  // 000000007B1C: D3B14032 18023932
	v_cvt_pk_fp8_f32 v200, v50, v51 op_sel:[0,0,1]             // 000000007B24: D2A240C8 00026732
	v_lshlrev_b32_e32 v50, 16, v202                            // 000000007B2C: 24659490
	v_and_b32_e32 v51, 0xffff0000, v202                        // 000000007B30: 266794FF FFFF0000
	v_pk_mul_f32 v[50:51], v[50:51], v[28:29]                  // 000000007B38: D3B14032 18023932
	v_cvt_pk_fp8_f32 v201, v50, v51                            // 000000007B40: D2A200C9 00026732
	v_lshlrev_b32_e32 v50, 16, v203                            // 000000007B48: 24659690
	v_and_b32_e32 v51, 0xffff0000, v203                        // 000000007B4C: 266796FF FFFF0000
	v_pk_mul_f32 v[50:51], v[50:51], v[28:29]                  // 000000007B54: D3B14032 18023932
	v_cvt_pk_fp8_f32 v201, v50, v51 op_sel:[0,0,1]             // 000000007B5C: D2A240C9 00026732
	v_lshlrev_b32_e32 v50, 16, v204                            // 000000007B64: 24659890
	v_and_b32_e32 v51, 0xffff0000, v204                        // 000000007B68: 266798FF FFFF0000
	v_pk_mul_f32 v[50:51], v[50:51], v[28:29]                  // 000000007B70: D3B14032 18023932
	v_cvt_pk_fp8_f32 v202, v50, v51                            // 000000007B78: D2A200CA 00026732
	v_lshlrev_b32_e32 v50, 16, v205                            // 000000007B80: 24659A90
	v_and_b32_e32 v51, 0xffff0000, v205                        // 000000007B84: 26679AFF FFFF0000
	v_pk_mul_f32 v[50:51], v[50:51], v[28:29]                  // 000000007B8C: D3B14032 18023932
	v_cvt_pk_fp8_f32 v202, v50, v51 op_sel:[0,0,1]             // 000000007B94: D2A240CA 00026732
	v_lshlrev_b32_e32 v50, 16, v206                            // 000000007B9C: 24659C90
	v_and_b32_e32 v51, 0xffff0000, v206                        // 000000007BA0: 26679CFF FFFF0000
	v_pk_mul_f32 v[50:51], v[50:51], v[28:29]                  // 000000007BA8: D3B14032 18023932
	v_cvt_pk_fp8_f32 v203, v50, v51                            // 000000007BB0: D2A200CB 00026732
	v_lshlrev_b32_e32 v50, 16, v207                            // 000000007BB8: 24659E90
	v_and_b32_e32 v51, 0xffff0000, v207                        // 000000007BBC: 26679EFF FFFF0000
	v_pk_mul_f32 v[50:51], v[50:51], v[28:29]                  // 000000007BC4: D3B14032 18023932
	v_cvt_pk_fp8_f32 v203, v50, v51 op_sel:[0,0,1]             // 000000007BCC: D2A240CB 00026732
	v_lshlrev_b32_e32 v50, 4, v0                               // 000000007BD4: 24640084
	v_add_u32_e64 v50, v50, s50                                // 000000007BD8: D1340032 00006532
	ds_write_b128 v50, v[200:203] offset:4224                  // 000000007BE0: D9BE1080 0000C832
	v_add_u32_e32 v50, 0x200, v33                              // 000000007BE8: 686442FF 00000200
	s_mov_b64 s[60:61], exec                                   // 000000007BF0: BEBC017E
	s_mov_b32 s62, 0xf0f0f0f                                   // 000000007BF4: BEBE00FF 0F0F0F0F
	s_mov_b32 s63, 0xf0f0f0f                                   // 000000007BFC: BEBF00FF 0F0F0F0F
	s_mov_b64 exec, s[62:63]                                   // 000000007C04: BEFE013E
	ds_write_b32 v50, v32 offset:8448                          // 000000007C08: D81A2100 00002032
	s_mov_b64 exec, s[60:61]                                   // 000000007C10: BEFE013C
	v_mul_f32_dpp v50, v24, v19 row_newbcast:0 row_mask:0xf bank_mask:0xf// 000000007C14: 0A6426FA FF015018
	v_mov_b32_e32 v51, v50                                     // 000000007C1C: 7E660332
	v_pk_fma_f32 v[64:65], v[160:161], v[50:51], v[64:65]      // 000000007C20: D3B04040 1D0265A0
	v_pk_fma_f32 v[66:67], v[162:163], v[50:51], v[66:67]      // 000000007C28: D3B04042 1D0A65A2
	v_pk_fma_f32 v[72:73], v[168:169], v[50:51], v[72:73]      // 000000007C30: D3B04048 1D2265A8
	v_pk_fma_f32 v[74:75], v[170:171], v[50:51], v[74:75]      // 000000007C38: D3B0404A 1D2A65AA
	v_mul_f32_dpp v50, v24, v19 row_newbcast:1 row_mask:0xf bank_mask:0xf// 000000007C40: 0A6426FA FF015118
	v_mov_b32_e32 v51, v50                                     // 000000007C48: 7E660332
	v_pk_fma_f32 v[80:81], v[176:177], v[50:51], v[80:81]      // 000000007C4C: D3B04050 1D4265B0
	v_pk_fma_f32 v[82:83], v[178:179], v[50:51], v[82:83]      // 000000007C54: D3B04052 1D4A65B2
	v_pk_fma_f32 v[88:89], v[184:185], v[50:51], v[88:89]      // 000000007C5C: D3B04058 1D6265B8
	v_pk_fma_f32 v[90:91], v[186:187], v[50:51], v[90:91]      // 000000007C64: D3B0405A 1D6A65BA
	v_mul_f32_dpp v50, v24, v20 row_newbcast:0 row_mask:0xf bank_mask:0xf// 000000007C6C: 0A6428FA FF015018
	v_mov_b32_e32 v51, v50                                     // 000000007C74: 7E660332
	v_pk_fma_f32 v[68:69], v[164:165], v[50:51], v[68:69]      // 000000007C78: D3B04044 1D1265A4
	v_pk_fma_f32 v[70:71], v[166:167], v[50:51], v[70:71]      // 000000007C80: D3B04046 1D1A65A6
	v_pk_fma_f32 v[76:77], v[172:173], v[50:51], v[76:77]      // 000000007C88: D3B0404C 1D3265AC
	v_pk_fma_f32 v[78:79], v[174:175], v[50:51], v[78:79]      // 000000007C90: D3B0404E 1D3A65AE
	v_mul_f32_dpp v50, v24, v20 row_newbcast:1 row_mask:0xf bank_mask:0xf// 000000007C98: 0A6428FA FF015118
	v_mov_b32_e32 v51, v50                                     // 000000007CA0: 7E660332
	v_pk_fma_f32 v[84:85], v[180:181], v[50:51], v[84:85]      // 000000007CA4: D3B04054 1D5265B4
	v_pk_fma_f32 v[86:87], v[182:183], v[50:51], v[86:87]      // 000000007CAC: D3B04056 1D5A65B6
	v_pk_fma_f32 v[92:93], v[188:189], v[50:51], v[92:93]      // 000000007CB4: D3B0405C 1D7265BC
	v_pk_fma_f32 v[94:95], v[190:191], v[50:51], v[94:95]      // 000000007CBC: D3B0405E 1D7A65BE
	s_waitcnt vmcnt(13)                                        // 000000007CC4: BF8C0F7D
	v_mfma_f32_16x16x128_f8f6f4 v[160:163], a[96:103], v[232:239], 0// 000000007CC8: D3AD00A0 0A03D160
	buffer_load_dwordx4 a[32:35], v38, s[24:27], 0 offen offset:2048// 000000007CD0: E05C1800 80862026
	buffer_load_dwordx4 a[36:39], v38, s[24:27], 0 offen offset:3072// 000000007CD8: E05C1C00 80862426
	v_mfma_f32_16x16x128_f8f6f4 v[164:167], a[96:103], v[248:255], 0// 000000007CE0: D3AD00A4 0A03F160
	s_waitcnt lgkmcnt(0)                                       // 000000007CE8: BF8CC07F
	s_barrier                                                  // 000000007CEC: BF8A0000
	ds_read_b128 v[192:195], v2                                // 000000007CF0: D9FE0000 C0000002
	ds_read_b128 v[196:199], v2 offset:64                      // 000000007CF8: D9FE0040 C4000002
	ds_read_b32 v15, v3 offset:8448                            // 000000007D00: D86C2100 0F000003
	v_mfma_f32_16x16x128_f8f6f4 v[168:171], a[104:111], v[232:239], 0// 000000007D08: D3AD00A8 0A03D168
	buffer_load_dwordx4 a[40:43], v39, s[24:27], 0 offen offset:2048// 000000007D10: E05C1800 80862827
	buffer_load_dwordx4 a[44:47], v39, s[24:27], 0 offen offset:3072// 000000007D18: E05C1C00 80862C27
	v_mfma_f32_16x16x128_f8f6f4 v[172:175], a[104:111], v[248:255], 0// 000000007D20: D3AD00AC 0A03F168
	ds_read_b128 v[200:203], v2 offset:4224                    // 000000007D28: D9FE1080 C8000002
	ds_read_b128 v[204:207], v2 offset:4288                    // 000000007D30: D9FE10C0 CC000002
	ds_read_b32 v16, v3 offset:8704                            // 000000007D38: D86C2200 10000003
	s_waitcnt vmcnt(13)                                        // 000000007D40: BF8C0F7D
	v_mfma_f32_16x16x128_f8f6f4 v[176:179], a[112:119], v[232:239], 0// 000000007D44: D3AD00B0 0A03D170
	buffer_load_dwordx4 a[48:51], v40, s[24:27], 0 offen offset:2048// 000000007D4C: E05C1800 80863028
	buffer_load_dwordx4 a[52:55], v40, s[24:27], 0 offen offset:3072// 000000007D54: E05C1C00 80863428
	v_mfma_f32_16x16x128_f8f6f4 v[180:183], a[112:119], v[248:255], 0// 000000007D5C: D3AD00B4 0A03F170
	ds_read_b128 v[208:211], v2 offset:512                     // 000000007D64: D9FE0200 D0000002
	ds_read_b128 v[212:215], v2 offset:576                     // 000000007D6C: D9FE0240 D4000002
	ds_read_b32 v17, v3 offset:8960                            // 000000007D74: D86C2300 11000003
	v_mfma_f32_16x16x128_f8f6f4 v[184:187], a[120:127], v[232:239], 0// 000000007D7C: D3AD00B8 0A03D178
	buffer_load_dwordx4 a[56:59], v41, s[24:27], 0 offen offset:2048// 000000007D84: E05C1800 80863829
	buffer_load_dwordx4 a[60:63], v41, s[24:27], 0 offen offset:3072// 000000007D8C: E05C1C00 80863C29
	v_mfma_f32_16x16x128_f8f6f4 v[188:191], a[120:127], v[248:255], 0// 000000007D94: D3AD00BC 0A03F178
	ds_read_b128 v[216:219], v2 offset:4736                    // 000000007D9C: D9FE1280 D8000002
	ds_read_b128 v[220:223], v2 offset:4800                    // 000000007DA4: D9FE12C0 DC000002
	ds_read_b32 v18, v3 offset:9216                            // 000000007DAC: D86C2400 12000003
	v_mul_f32_dpp v50, v24, v21 row_newbcast:2 row_mask:0xf bank_mask:0xf// 000000007DB4: 0A642AFA FF015218
	v_mov_b32_e32 v51, v50                                     // 000000007DBC: 7E660332
	v_pk_fma_f32 v[64:65], v[160:161], v[50:51], v[64:65]      // 000000007DC0: D3B04040 1D0265A0
	v_pk_fma_f32 v[66:67], v[162:163], v[50:51], v[66:67]      // 000000007DC8: D3B04042 1D0A65A2
	v_pk_fma_f32 v[72:73], v[168:169], v[50:51], v[72:73]      // 000000007DD0: D3B04048 1D2265A8
	v_pk_fma_f32 v[74:75], v[170:171], v[50:51], v[74:75]      // 000000007DD8: D3B0404A 1D2A65AA
	v_mul_f32_dpp v50, v24, v21 row_newbcast:3 row_mask:0xf bank_mask:0xf// 000000007DE0: 0A642AFA FF015318
	v_mov_b32_e32 v51, v50                                     // 000000007DE8: 7E660332
	v_pk_fma_f32 v[80:81], v[176:177], v[50:51], v[80:81]      // 000000007DEC: D3B04050 1D4265B0
	v_pk_fma_f32 v[82:83], v[178:179], v[50:51], v[82:83]      // 000000007DF4: D3B04052 1D4A65B2
	v_pk_fma_f32 v[88:89], v[184:185], v[50:51], v[88:89]      // 000000007DFC: D3B04058 1D6265B8
	v_pk_fma_f32 v[90:91], v[186:187], v[50:51], v[90:91]      // 000000007E04: D3B0405A 1D6A65BA
	v_mul_f32_dpp v50, v24, v22 row_newbcast:2 row_mask:0xf bank_mask:0xf// 000000007E0C: 0A642CFA FF015218
	v_mov_b32_e32 v51, v50                                     // 000000007E14: 7E660332
	v_pk_fma_f32 v[68:69], v[164:165], v[50:51], v[68:69]      // 000000007E18: D3B04044 1D1265A4
	v_pk_fma_f32 v[70:71], v[166:167], v[50:51], v[70:71]      // 000000007E20: D3B04046 1D1A65A6
	v_pk_fma_f32 v[76:77], v[172:173], v[50:51], v[76:77]      // 000000007E28: D3B0404C 1D3265AC
	v_pk_fma_f32 v[78:79], v[174:175], v[50:51], v[78:79]      // 000000007E30: D3B0404E 1D3A65AE
	v_mul_f32_dpp v50, v24, v22 row_newbcast:3 row_mask:0xf bank_mask:0xf// 000000007E38: 0A642CFA FF015318
	v_mov_b32_e32 v51, v50                                     // 000000007E40: 7E660332
	v_pk_fma_f32 v[84:85], v[180:181], v[50:51], v[84:85]      // 000000007E44: D3B04054 1D5265B4
	v_pk_fma_f32 v[86:87], v[182:183], v[50:51], v[86:87]      // 000000007E4C: D3B04056 1D5A65B6
	v_pk_fma_f32 v[92:93], v[188:189], v[50:51], v[92:93]      // 000000007E54: D3B0405C 1D7265BC
	v_pk_fma_f32 v[94:95], v[190:191], v[50:51], v[94:95]      // 000000007E5C: D3B0405E 1D7A65BE
	s_add_u32 s60, 0x200, s80                                  // 000000007E64: 803C50FF 00000200
	s_cmp_lt_u32 s60, s81                                      // 000000007E6C: BF0A513C
	s_cselect_b32 s57, s57, 0                                  // 000000007E70: 85398039
	s_add_u32 s60, 0x200, s80                                  // 000000007E74: 803C50FF 00000200
	s_cmp_lt_u32 s60, s81                                      // 000000007E7C: BF0A513C
	s_cselect_b32 s58, s58, 0                                  // 000000007E80: 853A803A
	s_add_u32 s20, s57, s20                                    // 000000007E84: 80141439
	s_addc_u32 s21, 0, s21                                     // 000000007E88: 82151580
	s_add_u32 s24, s58, s24                                    // 000000007E8C: 8018183A
	s_addc_u32 s25, 0, s25                                     // 000000007E90: 82191980
	s_add_u32 s92, s90, s92                                    // 000000007E94: 805C5C5A
	s_addc_u32 s93, 0, s93                                     // 000000007E98: 825D5D80
	s_addk_i32 s80, 0x100                                      // 000000007E9C: B7500100
	s_cmp_lt_i32 s80, s81                                      // 000000007EA0: BF045150
	s_cbranch_scc0 label_142B                                  // 000000007EA4: BF840001
	s_branch label_0EFE                                        // 000000007EA8: BF82FAD3

0000000000007eac <label_142B>:
	s_mov_b32 s20, 0                                           // 000000007EAC: BE940080
	s_cmp_lt_u32 s89, s66                                      // 000000007EB0: BF0A4259
	s_cselect_b32 s60, 0, 1                                    // 000000007EB4: 853C8180
	s_lshl1_add_u32 s20, s20, s60                              // 000000007EB8: 97143C14
	s_cmp_lt_u32 s88, s66                                      // 000000007EBC: BF0A4258
	s_cselect_b32 s60, 0, 1                                    // 000000007EC0: 853C8180
	s_lshl1_add_u32 s20, s20, s60                              // 000000007EC4: 97143C14
	s_cmp_lt_u32 s87, s66                                      // 000000007EC8: BF0A4257
	s_cselect_b32 s60, 0, 1                                    // 000000007ECC: 853C8180
	s_lshl1_add_u32 s20, s20, s60                              // 000000007ED0: 97143C14
	s_cmp_lt_u32 s86, s66                                      // 000000007ED4: BF0A4256
	s_cselect_b32 s60, 0, 1                                    // 000000007ED8: 853C8180
	s_lshl1_add_u32 s20, s20, s60                              // 000000007EDC: 97143C14
	s_cmp_lt_u32 s85, s66                                      // 000000007EE0: BF0A4255
	s_cselect_b32 s60, 0, 1                                    // 000000007EE4: 853C8180
	s_lshl1_add_u32 s20, s20, s60                              // 000000007EE8: 97143C14
	s_cmp_lt_u32 s84, s66                                      // 000000007EEC: BF0A4254
	s_cselect_b32 s60, 0, 1                                    // 000000007EF0: 853C8180
	s_lshl1_add_u32 s20, s20, s60                              // 000000007EF4: 97143C14
	s_cmp_lt_u32 s83, s66                                      // 000000007EF8: BF0A4253
	s_cselect_b32 s60, 0, 1                                    // 000000007EFC: 853C8180
	s_lshl1_add_u32 s20, s20, s60                              // 000000007F00: 97143C14
	s_cmp_lt_u32 s82, s66                                      // 000000007F04: BF0A4252
	s_cselect_b32 s60, 0, 1                                    // 000000007F08: 853C8180
	s_lshl1_add_u32 s20, s20, s60                              // 000000007F0C: 97143C14
	s_waitcnt vmcnt(12)                                        // 000000007F10: BF8C0F7C
	buffer_load_dwordx4 a[0:3], v42, s[12:15], 0 offen         // 000000007F14: E05C1000 8083002A
	v_mul_f32_e64 v50, -v128, s6                               // 000000007F1C: D1050032 20000D80
	v_mul_f32_e64 v51, -v129, s6                               // 000000007F24: D1050033 20000D81
	v_mul_f32_e64 v52, -v130, s6                               // 000000007F2C: D1050034 20000D82
	v_mul_f32_e64 v53, -v131, s6                               // 000000007F34: D1050035 20000D83
	v_exp_f32_e32 v50, v50                                     // 000000007F3C: 7E644132
	v_exp_f32_e32 v51, v51                                     // 000000007F40: 7E664133
	v_exp_f32_e32 v52, v52                                     // 000000007F44: 7E684134
	v_exp_f32_e32 v53, v53                                     // 000000007F48: 7E6A4135
	buffer_load_dwordx4 a[4:7], v42, s[12:15], 0 offen offset:1024// 000000007F4C: E05C1400 8083042A
	v_add_f32_e64 v50, v50, 1.0                                // 000000007F54: D1010032 0001E532
	v_add_f32_e64 v51, v51, 1.0                                // 000000007F5C: D1010033 0001E533
	v_add_f32_e64 v52, v52, 1.0                                // 000000007F64: D1010034 0001E534
	v_add_f32_e64 v53, v53, 1.0                                // 000000007F6C: D1010035 0001E535
	v_rcp_f32_e32 v50, v50                                     // 000000007F74: 7E644532
	v_rcp_f32_e32 v51, v51                                     // 000000007F78: 7E664533
	v_rcp_f32_e32 v52, v52                                     // 000000007F7C: 7E684534
	v_rcp_f32_e32 v53, v53                                     // 000000007F80: 7E6A4535
	v_mul_f32_e32 v128, v128, v50                              // 000000007F84: 0B006580
	v_mul_f32_e32 v129, v129, v51                              // 000000007F88: 0B026781
	v_mul_f32_e32 v130, v130, v52                              // 000000007F8C: 0B046982
	v_mul_f32_e32 v131, v131, v53                              // 000000007F90: 0B066B83
	v_mul_f32_e32 v128, v128, v64                              // 000000007F94: 0B008180
	v_mul_f32_e32 v129, v129, v65                              // 000000007F98: 0B028381
	v_mul_f32_e32 v130, v130, v66                              // 000000007F9C: 0B048582
	v_mul_f32_e32 v131, v131, v67                              // 000000007FA0: 0B068783
	buffer_load_dwordx4 a[8:11], v43, s[12:15], 0 offen        // 000000007FA4: E05C1000 8083082B
	v_mul_f32_e64 v50, -v132, s6                               // 000000007FAC: D1050032 20000D84
	v_mul_f32_e64 v51, -v133, s6                               // 000000007FB4: D1050033 20000D85
	v_mul_f32_e64 v52, -v134, s6                               // 000000007FBC: D1050034 20000D86
	v_mul_f32_e64 v53, -v135, s6                               // 000000007FC4: D1050035 20000D87
	v_exp_f32_e32 v50, v50                                     // 000000007FCC: 7E644132
	v_exp_f32_e32 v51, v51                                     // 000000007FD0: 7E664133
	v_exp_f32_e32 v52, v52                                     // 000000007FD4: 7E684134
	v_exp_f32_e32 v53, v53                                     // 000000007FD8: 7E6A4135
	buffer_load_dwordx4 a[12:15], v43, s[12:15], 0 offen offset:1024// 000000007FDC: E05C1400 80830C2B
	v_add_f32_e64 v50, v50, 1.0                                // 000000007FE4: D1010032 0001E532
	v_add_f32_e64 v51, v51, 1.0                                // 000000007FEC: D1010033 0001E533
	v_add_f32_e64 v52, v52, 1.0                                // 000000007FF4: D1010034 0001E534
	v_add_f32_e64 v53, v53, 1.0                                // 000000007FFC: D1010035 0001E535
	v_rcp_f32_e32 v50, v50                                     // 000000008004: 7E644532
	v_rcp_f32_e32 v51, v51                                     // 000000008008: 7E664533
	v_rcp_f32_e32 v52, v52                                     // 00000000800C: 7E684534
	v_rcp_f32_e32 v53, v53                                     // 000000008010: 7E6A4535
	v_mul_f32_e32 v132, v132, v50                              // 000000008014: 0B086584
	v_mul_f32_e32 v133, v133, v51                              // 000000008018: 0B0A6785
	v_mul_f32_e32 v134, v134, v52                              // 00000000801C: 0B0C6986
	v_mul_f32_e32 v135, v135, v53                              // 000000008020: 0B0E6B87
	v_mul_f32_e32 v132, v132, v68                              // 000000008024: 0B088984
	v_mul_f32_e32 v133, v133, v69                              // 000000008028: 0B0A8B85
	v_mul_f32_e32 v134, v134, v70                              // 00000000802C: 0B0C8D86
	v_mul_f32_e32 v135, v135, v71                              // 000000008030: 0B0E8F87
	s_waitcnt vmcnt(12)                                        // 000000008034: BF8C0F7C
	buffer_load_dwordx4 a[16:19], v44, s[12:15], 0 offen       // 000000008038: E05C1000 8083102C
	v_mul_f32_e64 v50, -v136, s6                               // 000000008040: D1050032 20000D88
	v_mul_f32_e64 v51, -v137, s6                               // 000000008048: D1050033 20000D89
	v_mul_f32_e64 v52, -v138, s6                               // 000000008050: D1050034 20000D8A
	v_mul_f32_e64 v53, -v139, s6                               // 000000008058: D1050035 20000D8B
	v_exp_f32_e32 v50, v50                                     // 000000008060: 7E644132
	v_exp_f32_e32 v51, v51                                     // 000000008064: 7E664133
	v_exp_f32_e32 v52, v52                                     // 000000008068: 7E684134
	v_exp_f32_e32 v53, v53                                     // 00000000806C: 7E6A4135
	buffer_load_dwordx4 a[20:23], v44, s[12:15], 0 offen offset:1024// 000000008070: E05C1400 8083142C
	v_add_f32_e64 v50, v50, 1.0                                // 000000008078: D1010032 0001E532
	v_add_f32_e64 v51, v51, 1.0                                // 000000008080: D1010033 0001E533
	v_add_f32_e64 v52, v52, 1.0                                // 000000008088: D1010034 0001E534
	v_add_f32_e64 v53, v53, 1.0                                // 000000008090: D1010035 0001E535
	v_rcp_f32_e32 v50, v50                                     // 000000008098: 7E644532
	v_rcp_f32_e32 v51, v51                                     // 00000000809C: 7E664533
	v_rcp_f32_e32 v52, v52                                     // 0000000080A0: 7E684534
	v_rcp_f32_e32 v53, v53                                     // 0000000080A4: 7E6A4535
	v_mul_f32_e32 v136, v136, v50                              // 0000000080A8: 0B106588
	v_mul_f32_e32 v137, v137, v51                              // 0000000080AC: 0B126789
	v_mul_f32_e32 v138, v138, v52                              // 0000000080B0: 0B14698A
	v_mul_f32_e32 v139, v139, v53                              // 0000000080B4: 0B166B8B
	v_mul_f32_e32 v136, v136, v72                              // 0000000080B8: 0B109188
	v_mul_f32_e32 v137, v137, v73                              // 0000000080BC: 0B129389
	v_mul_f32_e32 v138, v138, v74                              // 0000000080C0: 0B14958A
	v_mul_f32_e32 v139, v139, v75                              // 0000000080C4: 0B16978B
	buffer_load_dwordx4 a[24:27], v45, s[12:15], 0 offen       // 0000000080C8: E05C1000 8083182D
	v_mul_f32_e64 v50, -v140, s6                               // 0000000080D0: D1050032 20000D8C
	v_mul_f32_e64 v51, -v141, s6                               // 0000000080D8: D1050033 20000D8D
	v_mul_f32_e64 v52, -v142, s6                               // 0000000080E0: D1050034 20000D8E
	v_mul_f32_e64 v53, -v143, s6                               // 0000000080E8: D1050035 20000D8F
	v_exp_f32_e32 v50, v50                                     // 0000000080F0: 7E644132
	v_exp_f32_e32 v51, v51                                     // 0000000080F4: 7E664133
	v_exp_f32_e32 v52, v52                                     // 0000000080F8: 7E684134
	v_exp_f32_e32 v53, v53                                     // 0000000080FC: 7E6A4135
	buffer_load_dwordx4 a[28:31], v45, s[12:15], 0 offen offset:1024// 000000008100: E05C1400 80831C2D
	s_add_u32 s12, s78, s12                                    // 000000008108: 800C0C4E
	s_addc_u32 s13, 0, s13                                     // 00000000810C: 820D0D80
	v_add_f32_e64 v50, v50, 1.0                                // 000000008110: D1010032 0001E532
	v_add_f32_e64 v51, v51, 1.0                                // 000000008118: D1010033 0001E533
	v_add_f32_e64 v52, v52, 1.0                                // 000000008120: D1010034 0001E534
	v_add_f32_e64 v53, v53, 1.0                                // 000000008128: D1010035 0001E535
	v_rcp_f32_e32 v50, v50                                     // 000000008130: 7E644532
	v_rcp_f32_e32 v51, v51                                     // 000000008134: 7E664533
	v_rcp_f32_e32 v52, v52                                     // 000000008138: 7E684534
	v_rcp_f32_e32 v53, v53                                     // 00000000813C: 7E6A4535
	v_mul_f32_e32 v140, v140, v50                              // 000000008140: 0B18658C
	v_mul_f32_e32 v141, v141, v51                              // 000000008144: 0B1A678D
	v_mul_f32_e32 v142, v142, v52                              // 000000008148: 0B1C698E
	v_mul_f32_e32 v143, v143, v53                              // 00000000814C: 0B1E6B8F
	v_mul_f32_e32 v140, v140, v76                              // 000000008150: 0B18998C
	v_mul_f32_e32 v141, v141, v77                              // 000000008154: 0B1A9B8D
	v_mul_f32_e32 v142, v142, v78                              // 000000008158: 0B1C9D8E
	v_mul_f32_e32 v143, v143, v79                              // 00000000815C: 0B1E9F8F
	s_waitcnt vmcnt(12)                                        // 000000008160: BF8C0F7C
	buffer_load_dwordx4 a[32:35], v42, s[12:15], 0 offen       // 000000008164: E05C1000 8083202A
	v_mul_f32_e64 v50, -v144, s6                               // 00000000816C: D1050032 20000D90
	v_mul_f32_e64 v51, -v145, s6                               // 000000008174: D1050033 20000D91
	v_mul_f32_e64 v52, -v146, s6                               // 00000000817C: D1050034 20000D92
	v_mul_f32_e64 v53, -v147, s6                               // 000000008184: D1050035 20000D93
	v_exp_f32_e32 v50, v50                                     // 00000000818C: 7E644132
	v_exp_f32_e32 v51, v51                                     // 000000008190: 7E664133
	v_exp_f32_e32 v52, v52                                     // 000000008194: 7E684134
	v_exp_f32_e32 v53, v53                                     // 000000008198: 7E6A4135
	buffer_load_dwordx4 a[36:39], v42, s[12:15], 0 offen offset:1024// 00000000819C: E05C1400 8083242A
	v_add_f32_e64 v50, v50, 1.0                                // 0000000081A4: D1010032 0001E532
	v_add_f32_e64 v51, v51, 1.0                                // 0000000081AC: D1010033 0001E533
	v_add_f32_e64 v52, v52, 1.0                                // 0000000081B4: D1010034 0001E534
	v_add_f32_e64 v53, v53, 1.0                                // 0000000081BC: D1010035 0001E535
	v_rcp_f32_e32 v50, v50                                     // 0000000081C4: 7E644532
	v_rcp_f32_e32 v51, v51                                     // 0000000081C8: 7E664533
	v_rcp_f32_e32 v52, v52                                     // 0000000081CC: 7E684534
	v_rcp_f32_e32 v53, v53                                     // 0000000081D0: 7E6A4535
	v_mul_f32_e32 v144, v144, v50                              // 0000000081D4: 0B206590
	v_mul_f32_e32 v145, v145, v51                              // 0000000081D8: 0B226791
	v_mul_f32_e32 v146, v146, v52                              // 0000000081DC: 0B246992
	v_mul_f32_e32 v147, v147, v53                              // 0000000081E0: 0B266B93
	v_mul_f32_e32 v144, v144, v80                              // 0000000081E4: 0B20A190
	v_mul_f32_e32 v145, v145, v81                              // 0000000081E8: 0B22A391
	v_mul_f32_e32 v146, v146, v82                              // 0000000081EC: 0B24A592
	v_mul_f32_e32 v147, v147, v83                              // 0000000081F0: 0B26A793
	buffer_load_dwordx4 a[40:43], v43, s[12:15], 0 offen       // 0000000081F4: E05C1000 8083282B
	v_mul_f32_e64 v50, -v148, s6                               // 0000000081FC: D1050032 20000D94
	v_mul_f32_e64 v51, -v149, s6                               // 000000008204: D1050033 20000D95
	v_mul_f32_e64 v52, -v150, s6                               // 00000000820C: D1050034 20000D96
	v_mul_f32_e64 v53, -v151, s6                               // 000000008214: D1050035 20000D97
	v_exp_f32_e32 v50, v50                                     // 00000000821C: 7E644132
	v_exp_f32_e32 v51, v51                                     // 000000008220: 7E664133
	v_exp_f32_e32 v52, v52                                     // 000000008224: 7E684134
	v_exp_f32_e32 v53, v53                                     // 000000008228: 7E6A4135
	buffer_load_dwordx4 a[44:47], v43, s[12:15], 0 offen offset:1024// 00000000822C: E05C1400 80832C2B
	v_add_f32_e64 v50, v50, 1.0                                // 000000008234: D1010032 0001E532
	v_add_f32_e64 v51, v51, 1.0                                // 00000000823C: D1010033 0001E533
	v_add_f32_e64 v52, v52, 1.0                                // 000000008244: D1010034 0001E534
	v_add_f32_e64 v53, v53, 1.0                                // 00000000824C: D1010035 0001E535
	v_rcp_f32_e32 v50, v50                                     // 000000008254: 7E644532
	v_rcp_f32_e32 v51, v51                                     // 000000008258: 7E664533
	v_rcp_f32_e32 v52, v52                                     // 00000000825C: 7E684534
	v_rcp_f32_e32 v53, v53                                     // 000000008260: 7E6A4535
	v_mul_f32_e32 v148, v148, v50                              // 000000008264: 0B286594
	v_mul_f32_e32 v149, v149, v51                              // 000000008268: 0B2A6795
	v_mul_f32_e32 v150, v150, v52                              // 00000000826C: 0B2C6996
	v_mul_f32_e32 v151, v151, v53                              // 000000008270: 0B2E6B97
	v_mul_f32_e32 v148, v148, v84                              // 000000008274: 0B28A994
	v_mul_f32_e32 v149, v149, v85                              // 000000008278: 0B2AAB95
	v_mul_f32_e32 v150, v150, v86                              // 00000000827C: 0B2CAD96
	v_mul_f32_e32 v151, v151, v87                              // 000000008280: 0B2EAF97
	s_waitcnt vmcnt(12)                                        // 000000008284: BF8C0F7C
	buffer_load_dwordx4 a[48:51], v44, s[12:15], 0 offen       // 000000008288: E05C1000 8083302C
	v_mul_f32_e64 v50, -v152, s6                               // 000000008290: D1050032 20000D98
	v_mul_f32_e64 v51, -v153, s6                               // 000000008298: D1050033 20000D99
	v_mul_f32_e64 v52, -v154, s6                               // 0000000082A0: D1050034 20000D9A
	v_mul_f32_e64 v53, -v155, s6                               // 0000000082A8: D1050035 20000D9B
	v_exp_f32_e32 v50, v50                                     // 0000000082B0: 7E644132
	v_exp_f32_e32 v51, v51                                     // 0000000082B4: 7E664133
	v_exp_f32_e32 v52, v52                                     // 0000000082B8: 7E684134
	v_exp_f32_e32 v53, v53                                     // 0000000082BC: 7E6A4135
	buffer_load_dwordx4 a[52:55], v44, s[12:15], 0 offen offset:1024// 0000000082C0: E05C1400 8083342C
	v_add_f32_e64 v50, v50, 1.0                                // 0000000082C8: D1010032 0001E532
	v_add_f32_e64 v51, v51, 1.0                                // 0000000082D0: D1010033 0001E533
	v_add_f32_e64 v52, v52, 1.0                                // 0000000082D8: D1010034 0001E534
	v_add_f32_e64 v53, v53, 1.0                                // 0000000082E0: D1010035 0001E535
	v_rcp_f32_e32 v50, v50                                     // 0000000082E8: 7E644532
	v_rcp_f32_e32 v51, v51                                     // 0000000082EC: 7E664533
	v_rcp_f32_e32 v52, v52                                     // 0000000082F0: 7E684534
	v_rcp_f32_e32 v53, v53                                     // 0000000082F4: 7E6A4535
	v_mul_f32_e32 v152, v152, v50                              // 0000000082F8: 0B306598
	v_mul_f32_e32 v153, v153, v51                              // 0000000082FC: 0B326799
	v_mul_f32_e32 v154, v154, v52                              // 000000008300: 0B34699A
	v_mul_f32_e32 v155, v155, v53                              // 000000008304: 0B366B9B
	v_mul_f32_e32 v152, v152, v88                              // 000000008308: 0B30B198
	v_mul_f32_e32 v153, v153, v89                              // 00000000830C: 0B32B399
	v_mul_f32_e32 v154, v154, v90                              // 000000008310: 0B34B59A
	v_mul_f32_e32 v155, v155, v91                              // 000000008314: 0B36B79B
	buffer_load_dwordx4 a[56:59], v45, s[12:15], 0 offen       // 000000008318: E05C1000 8083382D
	v_mul_f32_e64 v50, -v156, s6                               // 000000008320: D1050032 20000D9C
	v_mul_f32_e64 v51, -v157, s6                               // 000000008328: D1050033 20000D9D
	v_mul_f32_e64 v52, -v158, s6                               // 000000008330: D1050034 20000D9E
	v_mul_f32_e64 v53, -v159, s6                               // 000000008338: D1050035 20000D9F
	v_exp_f32_e32 v50, v50                                     // 000000008340: 7E644132
	v_exp_f32_e32 v51, v51                                     // 000000008344: 7E664133
	v_exp_f32_e32 v52, v52                                     // 000000008348: 7E684134
	v_exp_f32_e32 v53, v53                                     // 00000000834C: 7E6A4135
	buffer_load_dwordx4 a[60:63], v45, s[12:15], 0 offen offset:1024// 000000008350: E05C1400 80833C2D
	v_add_f32_e64 v50, v50, 1.0                                // 000000008358: D1010032 0001E532
	v_add_f32_e64 v51, v51, 1.0                                // 000000008360: D1010033 0001E533
	v_add_f32_e64 v52, v52, 1.0                                // 000000008368: D1010034 0001E534
	v_add_f32_e64 v53, v53, 1.0                                // 000000008370: D1010035 0001E535
	v_rcp_f32_e32 v50, v50                                     // 000000008378: 7E644532
	v_rcp_f32_e32 v51, v51                                     // 00000000837C: 7E664533
	v_rcp_f32_e32 v52, v52                                     // 000000008380: 7E684534
	v_rcp_f32_e32 v53, v53                                     // 000000008384: 7E6A4535
	v_mul_f32_e32 v156, v156, v50                              // 000000008388: 0B38659C
	v_mul_f32_e32 v157, v157, v51                              // 00000000838C: 0B3A679D
	v_mul_f32_e32 v158, v158, v52                              // 000000008390: 0B3C699E
	v_mul_f32_e32 v159, v159, v53                              // 000000008394: 0B3E6B9F
	v_mul_f32_e32 v156, v156, v92                              // 000000008398: 0B38B99C
	v_mul_f32_e32 v157, v157, v93                              // 00000000839C: 0B3ABB9D
	v_mul_f32_e32 v158, v158, v94                              // 0000000083A0: 0B3CBD9E
	v_mul_f32_e32 v159, v159, v95                              // 0000000083A4: 0B3EBF9F
	v_lshlrev_b32_e32 v50, 2, v0                               // 0000000083A8: 24640082
	s_mul_i32 s60, s82, s71                                    // 0000000083AC: 923C4752
	v_add_u32_e64 v80, v50, s60                                // 0000000083B0: D1340050 00007932
	v_mov_b32_e32 v81, 0                                       // 0000000083B8: 7EA20280
	s_mul_i32 s60, s83, s71                                    // 0000000083BC: 923C4753
	v_add_u32_e64 v82, v50, s60                                // 0000000083C0: D1340052 00007932
	v_mov_b32_e32 v83, 0                                       // 0000000083C8: 7EA60280
	s_mul_i32 s60, s84, s71                                    // 0000000083CC: 923C4754
	v_add_u32_e64 v84, v50, s60                                // 0000000083D0: D1340054 00007932
	v_mov_b32_e32 v85, 0                                       // 0000000083D8: 7EAA0280
	s_mul_i32 s60, s85, s71                                    // 0000000083DC: 923C4755
	v_add_u32_e64 v86, v50, s60                                // 0000000083E0: D1340056 00007932
	v_mov_b32_e32 v87, 0                                       // 0000000083E8: 7EAE0280
	s_mul_i32 s60, s86, s71                                    // 0000000083EC: 923C4756
	v_add_u32_e64 v88, v50, s60                                // 0000000083F0: D1340058 00007932
	v_mov_b32_e32 v89, 0                                       // 0000000083F8: 7EB20280
	s_mul_i32 s60, s87, s71                                    // 0000000083FC: 923C4757
	v_add_u32_e64 v90, v50, s60                                // 000000008400: D134005A 00007932
	v_mov_b32_e32 v91, 0                                       // 000000008408: 7EB60280
	s_mul_i32 s60, s88, s71                                    // 00000000840C: 923C4758
	v_add_u32_e64 v92, v50, s60                                // 000000008410: D134005C 00007932
	v_mov_b32_e32 v93, 0                                       // 000000008418: 7EBA0280
	s_mul_i32 s60, s89, s71                                    // 00000000841C: 923C4759
	v_add_u32_e64 v94, v50, s60                                // 000000008420: D134005E 00007932
	v_mov_b32_e32 v95, 0                                       // 000000008428: 7EBE0280
	buffer_load_dword v23, v6, s[16:19], 0 offen               // 00000000842C: E0501000 80041706
	v_mov_b32_e32 v28, 0x358637bd                              // 000000008434: 7E3802FF 358637BD
	v_mov_b32_e32 v29, 0x358637bd                              // 00000000843C: 7E3A02FF 358637BD
	v_max3_f32 v28, |v128|, |v129|, v28                        // 000000008444: D1D3031C 04730380
	v_max3_f32 v28, |v130|, |v131|, v28                        // 00000000844C: D1D3031C 04730782
	v_max3_f32 v29, |v132|, |v133|, v29                        // 000000008454: D1D3031D 04770B84
	v_max3_f32 v29, |v134|, |v135|, v29                        // 00000000845C: D1D3031D 04770F86
	v_max3_f32 v28, |v136|, |v137|, v28                        // 000000008464: D1D3031C 04731388
	v_max3_f32 v28, |v138|, |v139|, v28                        // 00000000846C: D1D3031C 0473178A
	v_max3_f32 v29, |v140|, |v141|, v29                        // 000000008474: D1D3031D 04771B8C
	v_max3_f32 v29, |v142|, |v143|, v29                        // 00000000847C: D1D3031D 04771F8E
	v_mov_b32_e32 v50, v28                                     // 000000008484: 7E64031C
	s_nop 1                                                    // 000000008488: BF800001
	v_permlane32_swap_b32_e32 v50, v28                         // 00000000848C: 7E64B51C
	v_max_f32_e32 v28, v50, v28                                // 000000008490: 16383932
	v_mov_b32_e32 v50, v28                                     // 000000008494: 7E64031C
	s_nop 1                                                    // 000000008498: BF800001
	v_permlane16_swap_b32_e32 v50, v28                         // 00000000849C: 7E64B31C
	v_max_f32_e32 v28, v50, v28                                // 0000000084A0: 16383932
	v_mov_b32_e32 v50, v29                                     // 0000000084A4: 7E64031D
	s_nop 1                                                    // 0000000084A8: BF800001
	v_permlane32_swap_b32_e32 v50, v29                         // 0000000084AC: 7E64B51D
	v_max_f32_e32 v29, v50, v29                                // 0000000084B0: 163A3B32
	v_mov_b32_e32 v50, v29                                     // 0000000084B4: 7E64031D
	s_nop 1                                                    // 0000000084B8: BF800001
	v_permlane16_swap_b32_e32 v50, v29                         // 0000000084BC: 7E64B31D
	v_max_f32_e32 v29, v50, v29                                // 0000000084C0: 163A3B32
	v_lshlrev_b32_e32 v50, 2, v0                               // 0000000084C4: 24640082
	s_mul_i32 s60, 64, s7                                      // 0000000084C8: 923C07C0
	v_add_u32_e32 v50, s60, v50                                // 0000000084CC: 6864643C
	s_mov_b32 s60, 0xffff                                      // 0000000084D0: BEBC00FF 0000FFFF
	s_mov_b32 s61, 0                                           // 0000000084D8: BEBD0080
	s_mov_b64 exec, s[60:61]                                   // 0000000084DC: BEFE013C
	ds_write_b32 v50, v28 offset:18944                         // 0000000084E0: D81A4A00 00001C32
	ds_write_b32 v50, v29 offset:19200                         // 0000000084E8: D81A4B00 00001D32
	s_mov_b32 s60, -1                                          // 0000000084F0: BEBC00C1
	s_mov_b32 s61, -1                                          // 0000000084F4: BEBD00C1
	s_mov_b64 exec, s[60:61]                                   // 0000000084F8: BEFE013C
	s_waitcnt lgkmcnt(0)                                       // 0000000084FC: BF8CC07F
	s_barrier                                                  // 000000008500: BF8A0000
	v_lshlrev_b32_e32 v50, 2, v0                               // 000000008504: 24640082
	ds_read_b32 v160, v50 offset:18944                         // 000000008508: D86C4A00 A0000032
	ds_read_b32 v161, v50 offset:19200                         // 000000008510: D86C4B00 A1000032
	s_waitcnt lgkmcnt(0)                                       // 000000008518: BF8CC07F
	v_mov_b32_e32 v50, v160                                    // 00000000851C: 7E6403A0
	s_nop 1                                                    // 000000008520: BF800001
	v_permlane32_swap_b32_e32 v50, v160                        // 000000008524: 7E64B5A0
	v_max_f32_e32 v160, v50, v160                              // 000000008528: 17414132
	v_mov_b32_e32 v50, v160                                    // 00000000852C: 7E6403A0
	s_nop 1                                                    // 000000008530: BF800001
	v_permlane16_swap_b32_e32 v50, v160                        // 000000008534: 7E64B3A0
	v_max_f32_e32 v160, v50, v160                              // 000000008538: 17414132
	v_mov_b32_e32 v50, v161                                    // 00000000853C: 7E6403A1
	s_nop 1                                                    // 000000008540: BF800001
	v_permlane32_swap_b32_e32 v50, v161                        // 000000008544: 7E64B5A1
	v_max_f32_e32 v161, v50, v161                              // 000000008548: 17434332
	v_mov_b32_e32 v50, v161                                    // 00000000854C: 7E6403A1
	s_nop 1                                                    // 000000008550: BF800001
	v_permlane16_swap_b32_e32 v50, v161                        // 000000008554: 7E64B3A1
	v_max_f32_e32 v161, v50, v161                              // 000000008558: 17434332
	v_max_f32_e32 v28, v160, v28                               // 00000000855C: 163839A0
	v_max_f32_e32 v29, v161, v29                               // 000000008560: 163A3BA1
	v_rcp_f32_e32 v28, v28                                     // 000000008564: 7E38451C
	v_rcp_f32_e32 v29, v29                                     // 000000008568: 7E3A451D
	v_mov_b32_e32 v50, 0x43e00000                              // 00000000856C: 7E6402FF 43E00000
	v_mul_f32_e32 v28, v50, v28                                // 000000008574: 0A383932
	v_mul_f32_e32 v29, v50, v29                                // 000000008578: 0A3A3B32
	v_mul_f32_e32 v128, v28, v128                              // 00000000857C: 0B01011C
	v_mul_f32_e32 v129, v28, v129                              // 000000008580: 0B03031C
	v_mul_f32_e32 v130, v28, v130                              // 000000008584: 0B05051C
	v_mul_f32_e32 v131, v28, v131                              // 000000008588: 0B07071C
	v_cvt_pk_fp8_f32 v128, v128, v129                          // 00000000858C: D2A20080 00030380
	v_cvt_pk_fp8_f32 v128, v130, v131 op_sel:[0,0,1]           // 000000008594: D2A24080 00030782
	v_mul_f32_e32 v132, v29, v132                              // 00000000859C: 0B09091D
	v_mul_f32_e32 v133, v29, v133                              // 0000000085A0: 0B0B0B1D
	v_mul_f32_e32 v134, v29, v134                              // 0000000085A4: 0B0D0D1D
	v_mul_f32_e32 v135, v29, v135                              // 0000000085A8: 0B0F0F1D
	v_cvt_pk_fp8_f32 v129, v132, v133                          // 0000000085AC: D2A20081 00030B84
	v_cvt_pk_fp8_f32 v129, v134, v135 op_sel:[0,0,1]           // 0000000085B4: D2A24081 00030F86
	v_mul_f32_e32 v136, v28, v136                              // 0000000085BC: 0B11111C
	v_mul_f32_e32 v137, v28, v137                              // 0000000085C0: 0B13131C
	v_mul_f32_e32 v138, v28, v138                              // 0000000085C4: 0B15151C
	v_mul_f32_e32 v139, v28, v139                              // 0000000085C8: 0B17171C
	v_cvt_pk_fp8_f32 v130, v136, v137                          // 0000000085CC: D2A20082 00031388
	v_cvt_pk_fp8_f32 v130, v138, v139 op_sel:[0,0,1]           // 0000000085D4: D2A24082 0003178A
	v_mul_f32_e32 v140, v29, v140                              // 0000000085DC: 0B19191D
	v_mul_f32_e32 v141, v29, v141                              // 0000000085E0: 0B1B1B1D
	v_mul_f32_e32 v142, v29, v142                              // 0000000085E4: 0B1D1D1D
	v_mul_f32_e32 v143, v29, v143                              // 0000000085E8: 0B1F1F1D
	v_cvt_pk_fp8_f32 v131, v140, v141                          // 0000000085EC: D2A20083 00031B8C
	v_cvt_pk_fp8_f32 v131, v142, v143 op_sel:[0,0,1]           // 0000000085F4: D2A24083 00031F8E
	v_rcp_f32_e32 v32, v28                                     // 0000000085FC: 7E40451C
	v_rcp_f32_e32 v33, v29                                     // 000000008600: 7E42451D
	v_mov_b32_e32 v30, 0x358637bd                              // 000000008604: 7E3C02FF 358637BD
	v_mov_b32_e32 v31, 0x358637bd                              // 00000000860C: 7E3E02FF 358637BD
	v_max3_f32 v30, |v144|, |v145|, v30                        // 000000008614: D1D3031E 047B2390
	v_max3_f32 v30, |v146|, |v147|, v30                        // 00000000861C: D1D3031E 047B2792
	v_max3_f32 v31, |v148|, |v149|, v31                        // 000000008624: D1D3031F 047F2B94
	v_max3_f32 v31, |v150|, |v151|, v31                        // 00000000862C: D1D3031F 047F2F96
	v_max3_f32 v30, |v152|, |v153|, v30                        // 000000008634: D1D3031E 047B3398
	v_max3_f32 v30, |v154|, |v155|, v30                        // 00000000863C: D1D3031E 047B379A
	v_max3_f32 v31, |v156|, |v157|, v31                        // 000000008644: D1D3031F 047F3B9C
	v_max3_f32 v31, |v158|, |v159|, v31                        // 00000000864C: D1D3031F 047F3F9E
	v_mov_b32_e32 v50, v30                                     // 000000008654: 7E64031E
	s_nop 1                                                    // 000000008658: BF800001
	v_permlane32_swap_b32_e32 v50, v30                         // 00000000865C: 7E64B51E
	v_max_f32_e32 v30, v50, v30                                // 000000008660: 163C3D32
	v_mov_b32_e32 v50, v30                                     // 000000008664: 7E64031E
	s_nop 1                                                    // 000000008668: BF800001
	v_permlane16_swap_b32_e32 v50, v30                         // 00000000866C: 7E64B31E
	v_max_f32_e32 v30, v50, v30                                // 000000008670: 163C3D32
	v_mov_b32_e32 v50, v31                                     // 000000008674: 7E64031F
	s_nop 1                                                    // 000000008678: BF800001
	v_permlane32_swap_b32_e32 v50, v31                         // 00000000867C: 7E64B51F
	v_max_f32_e32 v31, v50, v31                                // 000000008680: 163E3F32
	v_mov_b32_e32 v50, v31                                     // 000000008684: 7E64031F
	s_nop 1                                                    // 000000008688: BF800001
	v_permlane16_swap_b32_e32 v50, v31                         // 00000000868C: 7E64B31F
	v_max_f32_e32 v31, v50, v31                                // 000000008690: 163E3F32
	v_lshlrev_b32_e32 v50, 2, v0                               // 000000008694: 24640082
	s_mul_i32 s60, 64, s7                                      // 000000008698: 923C07C0
	v_add_u32_e32 v50, s60, v50                                // 00000000869C: 6864643C
	s_mov_b32 s60, 0xffff                                      // 0000000086A0: BEBC00FF 0000FFFF
	s_mov_b32 s61, 0                                           // 0000000086A8: BEBD0080
	s_mov_b64 exec, s[60:61]                                   // 0000000086AC: BEFE013C
	ds_write_b32 v50, v30 offset:18944                         // 0000000086B0: D81A4A00 00001E32
	ds_write_b32 v50, v31 offset:19200                         // 0000000086B8: D81A4B00 00001F32
	s_mov_b32 s60, -1                                          // 0000000086C0: BEBC00C1
	s_mov_b32 s61, -1                                          // 0000000086C4: BEBD00C1
	s_mov_b64 exec, s[60:61]                                   // 0000000086C8: BEFE013C
	s_waitcnt lgkmcnt(0)                                       // 0000000086CC: BF8CC07F
	s_barrier                                                  // 0000000086D0: BF8A0000
	v_lshlrev_b32_e32 v50, 2, v0                               // 0000000086D4: 24640082
	ds_read_b32 v160, v50 offset:18944                         // 0000000086D8: D86C4A00 A0000032
	ds_read_b32 v161, v50 offset:19200                         // 0000000086E0: D86C4B00 A1000032
	s_waitcnt lgkmcnt(0)                                       // 0000000086E8: BF8CC07F
	v_mov_b32_e32 v50, v160                                    // 0000000086EC: 7E6403A0
	s_nop 1                                                    // 0000000086F0: BF800001
	v_permlane32_swap_b32_e32 v50, v160                        // 0000000086F4: 7E64B5A0
	v_max_f32_e32 v160, v50, v160                              // 0000000086F8: 17414132
	v_mov_b32_e32 v50, v160                                    // 0000000086FC: 7E6403A0
	s_nop 1                                                    // 000000008700: BF800001
	v_permlane16_swap_b32_e32 v50, v160                        // 000000008704: 7E64B3A0
	v_max_f32_e32 v160, v50, v160                              // 000000008708: 17414132
	v_mov_b32_e32 v50, v161                                    // 00000000870C: 7E6403A1
	s_nop 1                                                    // 000000008710: BF800001
	v_permlane32_swap_b32_e32 v50, v161                        // 000000008714: 7E64B5A1
	v_max_f32_e32 v161, v50, v161                              // 000000008718: 17434332
	v_mov_b32_e32 v50, v161                                    // 00000000871C: 7E6403A1
	s_nop 1                                                    // 000000008720: BF800001
	v_permlane16_swap_b32_e32 v50, v161                        // 000000008724: 7E64B3A1
	v_max_f32_e32 v161, v50, v161                              // 000000008728: 17434332
	v_max_f32_e32 v30, v160, v30                               // 00000000872C: 163C3DA0
	v_max_f32_e32 v31, v161, v31                               // 000000008730: 163E3FA1
	v_rcp_f32_e32 v30, v30                                     // 000000008734: 7E3C451E
	v_rcp_f32_e32 v31, v31                                     // 000000008738: 7E3E451F
	v_mov_b32_e32 v50, 0x43e00000                              // 00000000873C: 7E6402FF 43E00000
	v_mul_f32_e32 v30, v50, v30                                // 000000008744: 0A3C3D32
	v_mul_f32_e32 v31, v50, v31                                // 000000008748: 0A3E3F32
	v_mul_f32_e32 v144, v30, v144                              // 00000000874C: 0B21211E
	v_mul_f32_e32 v145, v30, v145                              // 000000008750: 0B23231E
	v_mul_f32_e32 v146, v30, v146                              // 000000008754: 0B25251E
	v_mul_f32_e32 v147, v30, v147                              // 000000008758: 0B27271E
	v_cvt_pk_fp8_f32 v132, v144, v145                          // 00000000875C: D2A20084 00032390
	v_cvt_pk_fp8_f32 v132, v146, v147 op_sel:[0,0,1]           // 000000008764: D2A24084 00032792
	v_mul_f32_e32 v148, v31, v148                              // 00000000876C: 0B29291F
	v_mul_f32_e32 v149, v31, v149                              // 000000008770: 0B2B2B1F
	v_mul_f32_e32 v150, v31, v150                              // 000000008774: 0B2D2D1F
	v_mul_f32_e32 v151, v31, v151                              // 000000008778: 0B2F2F1F
	v_cvt_pk_fp8_f32 v133, v148, v149                          // 00000000877C: D2A20085 00032B94
	v_cvt_pk_fp8_f32 v133, v150, v151 op_sel:[0,0,1]           // 000000008784: D2A24085 00032F96
	v_mul_f32_e32 v152, v30, v152                              // 00000000878C: 0B31311E
	v_mul_f32_e32 v153, v30, v153                              // 000000008790: 0B33331E
	v_mul_f32_e32 v154, v30, v154                              // 000000008794: 0B35351E
	v_mul_f32_e32 v155, v30, v155                              // 000000008798: 0B37371E
	v_cvt_pk_fp8_f32 v134, v152, v153                          // 00000000879C: D2A20086 00033398
	v_cvt_pk_fp8_f32 v134, v154, v155 op_sel:[0,0,1]           // 0000000087A4: D2A24086 0003379A
	v_mul_f32_e32 v156, v31, v156                              // 0000000087AC: 0B39391F
	v_mul_f32_e32 v157, v31, v157                              // 0000000087B0: 0B3B3B1F
	v_mul_f32_e32 v158, v31, v158                              // 0000000087B4: 0B3D3D1F
	v_mul_f32_e32 v159, v31, v159                              // 0000000087B8: 0B3F3F1F
	v_cvt_pk_fp8_f32 v135, v156, v157                          // 0000000087BC: D2A20087 00033B9C
	v_cvt_pk_fp8_f32 v135, v158, v159 op_sel:[0,0,1]           // 0000000087C4: D2A24087 00033F9E
	v_rcp_f32_e32 v34, v30                                     // 0000000087CC: 7E44451E
	v_rcp_f32_e32 v35, v31                                     // 0000000087D0: 7E46451F
	v_lshrrev_b32_e32 v50, 5, v0                               // 0000000087D4: 20640085
	v_lshlrev_b32_e32 v51, 6, v50                              // 0000000087D8: 24666486
	v_and_b32_e32 v50, 31, v0                                  // 0000000087DC: 2664009F
	v_lshrrev_b32_e32 v52, 4, v50                              // 0000000087E0: 20686484
	v_add_u32_e32 v51, v52, v51                                // 0000000087E4: 68666734
	v_and_b32_e32 v50, 15, v0                                  // 0000000087E8: 2664008F
	v_lshlrev_b32_e32 v50, 1, v50                              // 0000000087EC: 24646481
	v_add_u32_e32 v51, v50, v51                                // 0000000087F0: 68666732
	v_lshlrev_b32_e32 v50, 2, v51                              // 0000000087F4: 24646682
	s_mov_b32 s60, 0                                           // 0000000087F8: BEBC0080
	s_lshr_b32 s61, s7, 1                                      // 0000000087FC: 8F3D8107
	s_mul_i32 s61, s61, 0x200                                  // 000000008800: 923DFF3D 00000200
	s_add_u32 s60, s61, s60                                    // 000000008808: 803C3C3D
	s_and_b32 s61, s7, 1                                       // 00000000880C: 863D8107
	s_mul_i32 s61, s61, 0x80                                   // 000000008810: 923DFF3D 00000080
	s_add_u32 s60, s61, s60                                    // 000000008818: 803C3C3D
	v_add_u32_e64 v50, v50, s60                                // 00000000881C: D1340032 00007932
	ds_write_b32 v50, v128 offset:20992                        // 000000008824: D81A5200 00008032
	ds_write_b32 v50, v129 offset:25088                        // 00000000882C: D81A6200 00008132
	ds_write_b32 v50, v130 offset:22016                        // 000000008834: D81A5600 00008232
	ds_write_b32 v50, v131 offset:26112                        // 00000000883C: D81A6600 00008332
	ds_write_b32 v50, v132 offset:23040                        // 000000008844: D81A5A00 00008432
	ds_write_b32 v50, v133 offset:27136                        // 00000000884C: D81A6A00 00008532
	ds_write_b32 v50, v134 offset:24064                        // 000000008854: D81A5E00 00008632
	ds_write_b32 v50, v135 offset:28160                        // 00000000885C: D81A6E00 00008732
	s_waitcnt lgkmcnt(0)                                       // 000000008864: BF8CC07F
	s_barrier                                                  // 000000008868: BF8A0000
	v_and_b32_e32 v50, 31, v0                                  // 00000000886C: 2664009F
	v_lshrrev_b32_e32 v50, 4, v50                              // 000000008870: 20646484
	v_lshlrev_b32_e32 v51, 5, v50                              // 000000008874: 24666485
	v_lshrrev_b32_e32 v50, 5, v0                               // 000000008878: 20640085
	v_lshlrev_b32_e32 v50, 7, v50                              // 00000000887C: 24646487
	v_add_u32_e32 v51, v50, v51                                // 000000008880: 68666732
	v_and_b32_e32 v50, 15, v0                                  // 000000008884: 2664008F
	v_lshlrev_b32_e32 v50, 1, v50                              // 000000008888: 24646481
	v_add_u32_e32 v51, v50, v51                                // 00000000888C: 68666732
	v_lshlrev_b32_e32 v50, 2, v51                              // 000000008890: 24646682
	ds_read_b64 v[128:129], v50 offset:20992                   // 000000008894: D8EC5200 80000032
	ds_read_b64 v[130:131], v50 offset:21248                   // 00000000889C: D8EC5300 82000032
	ds_read_b64 v[132:133], v50 offset:22016                   // 0000000088A4: D8EC5600 84000032
	ds_read_b64 v[134:135], v50 offset:22272                   // 0000000088AC: D8EC5700 86000032
	ds_read_b64 v[136:137], v50 offset:23040                   // 0000000088B4: D8EC5A00 88000032
	ds_read_b64 v[138:139], v50 offset:23296                   // 0000000088BC: D8EC5B00 8A000032
	ds_read_b64 v[140:141], v50 offset:24064                   // 0000000088C4: D8EC5E00 8C000032
	ds_read_b64 v[142:143], v50 offset:24320                   // 0000000088CC: D8EC5F00 8E000032
	ds_read_b64 v[144:145], v50 offset:25088                   // 0000000088D4: D8EC6200 90000032
	ds_read_b64 v[146:147], v50 offset:25344                   // 0000000088DC: D8EC6300 92000032
	ds_read_b64 v[148:149], v50 offset:26112                   // 0000000088E4: D8EC6600 94000032
	ds_read_b64 v[150:151], v50 offset:26368                   // 0000000088EC: D8EC6700 96000032
	ds_read_b64 v[152:153], v50 offset:27136                   // 0000000088F4: D8EC6A00 98000032
	ds_read_b64 v[154:155], v50 offset:27392                   // 0000000088FC: D8EC6B00 9A000032
	ds_read_b64 v[156:157], v50 offset:28160                   // 000000008904: D8EC6E00 9C000032
	ds_read_b64 v[158:159], v50 offset:28416                   // 00000000890C: D8EC6F00 9E000032
	s_add_u32 s12, s56, s12                                    // 000000008914: 800C0C38
	s_addc_u32 s13, 0, s13                                     // 000000008918: 820D0D80
	s_add_u32 s16, s79, s16                                    // 00000000891C: 8010104F
	s_addc_u32 s17, 0, s17                                     // 000000008920: 82111180
	s_waitcnt lgkmcnt(0)                                       // 000000008924: BF8CC07F
	s_barrier                                                  // 000000008928: BF8A0000
	v_mov_b32_e32 v192, 0                                      // 00000000892C: 7F800280
	v_mov_b32_e32 v224, 0                                      // 000000008930: 7FC00280
	v_mov_b32_e32 v193, 0                                      // 000000008934: 7F820280
	v_mov_b32_e32 v225, 0                                      // 000000008938: 7FC20280
	v_mov_b32_e32 v194, 0                                      // 00000000893C: 7F840280
	v_mov_b32_e32 v226, 0                                      // 000000008940: 7FC40280
	v_mov_b32_e32 v195, 0                                      // 000000008944: 7F860280
	v_mov_b32_e32 v227, 0                                      // 000000008948: 7FC60280
	v_mov_b32_e32 v196, 0                                      // 00000000894C: 7F880280
	v_mov_b32_e32 v228, 0                                      // 000000008950: 7FC80280
	v_mov_b32_e32 v197, 0                                      // 000000008954: 7F8A0280
	v_mov_b32_e32 v229, 0                                      // 000000008958: 7FCA0280
	v_mov_b32_e32 v198, 0                                      // 00000000895C: 7F8C0280
	v_mov_b32_e32 v230, 0                                      // 000000008960: 7FCC0280
	v_mov_b32_e32 v199, 0                                      // 000000008964: 7F8E0280
	v_mov_b32_e32 v231, 0                                      // 000000008968: 7FCE0280
	v_mov_b32_e32 v200, 0                                      // 00000000896C: 7F900280
	v_mov_b32_e32 v232, 0                                      // 000000008970: 7FD00280
	v_mov_b32_e32 v201, 0                                      // 000000008974: 7F920280
	v_mov_b32_e32 v233, 0                                      // 000000008978: 7FD20280
	v_mov_b32_e32 v202, 0                                      // 00000000897C: 7F940280
	v_mov_b32_e32 v234, 0                                      // 000000008980: 7FD40280
	v_mov_b32_e32 v203, 0                                      // 000000008984: 7F960280
	v_mov_b32_e32 v235, 0                                      // 000000008988: 7FD60280
	v_mov_b32_e32 v204, 0                                      // 00000000898C: 7F980280
	v_mov_b32_e32 v236, 0                                      // 000000008990: 7FD80280
	v_mov_b32_e32 v205, 0                                      // 000000008994: 7F9A0280
	v_mov_b32_e32 v237, 0                                      // 000000008998: 7FDA0280
	v_mov_b32_e32 v206, 0                                      // 00000000899C: 7F9C0280
	v_mov_b32_e32 v238, 0                                      // 0000000089A0: 7FDC0280
	v_mov_b32_e32 v207, 0                                      // 0000000089A4: 7F9E0280
	v_mov_b32_e32 v239, 0                                      // 0000000089A8: 7FDE0280
	ds_write_b64 v4, v[192:193] offset:20992                   // 0000000089AC: D89A5200 0000C004
	ds_write_b64 v4, v[194:195] offset:29696                   // 0000000089B4: D89A7400 0000C204
	ds_write_b64 v4, v[196:197] offset:23168                   // 0000000089BC: D89A5A80 0000C404
	ds_write_b64 v4, v[198:199] offset:31872                   // 0000000089C4: D89A7C80 0000C604
	ds_write_b64 v4, v[200:201] offset:25344                   // 0000000089CC: D89A6300 0000C804
	ds_write_b64 v4, v[202:203] offset:34048                   // 0000000089D4: D89A8500 0000CA04
	ds_write_b64 v4, v[204:205] offset:27520                   // 0000000089DC: D89A6B80 0000CC04
	ds_write_b64 v4, v[206:207] offset:36224                   // 0000000089E4: D89A8D80 0000CE04
	s_mov_b32 s80, 0                                           // 0000000089EC: BED00080
	s_waitcnt vmcnt(0) expcnt(0) lgkmcnt(0)                    // 0000000089F0: BF8C0000

00000000000089f4 <label_16FD>:
	s_waitcnt vmcnt(12) lgkmcnt(0)                             // 0000000089F4: BF8C007C
	s_barrier                                                  // 0000000089F8: BF8A0000
	v_mfma_f32_16x16x128_f8f6f4 v[192:195], a[0:7], v[128:135], 0// 0000000089FC: D3AD00C0 0A030100
	buffer_load_dwordx4 a[64:67], v42, s[12:15], 0 offen       // 000000008A04: E05C1000 8083402A
	buffer_load_dwordx4 a[68:71], v42, s[12:15], 0 offen offset:1024// 000000008A0C: E05C1400 8083442A
	v_mfma_f32_16x16x128_f8f6f4 v[196:199], a[0:7], v[144:151], 0// 000000008A14: D3AD00C4 0A032100
	ds_read_b32 v64, v5 offset:20992                           // 000000008A1C: D86C5200 40000005
	ds_read_b32 v65, v5 offset:25344                           // 000000008A24: D86C6300 41000005
	ds_read_b32 v66, v5 offset:21000                           // 000000008A2C: D86C5208 42000005
	ds_read_b32 v67, v5 offset:25352                           // 000000008A34: D86C6308 43000005
	v_mfma_f32_16x16x128_f8f6f4 v[200:203], a[8:15], v[128:135], 0// 000000008A3C: D3AD00C8 0A030108
	buffer_load_dwordx4 a[72:75], v43, s[12:15], 0 offen       // 000000008A44: E05C1000 8083482B
	buffer_load_dwordx4 a[76:79], v43, s[12:15], 0 offen offset:1024// 000000008A4C: E05C1400 80834C2B
	buffer_load_dword v24, v6, s[16:19], 0 offen               // 000000008A54: E0501000 80041806
	v_mfma_f32_16x16x128_f8f6f4 v[204:207], a[8:15], v[144:151], 0// 000000008A5C: D3AD00CC 0A032108
	ds_read_b32 v68, v5 offset:21024                           // 000000008A64: D86C5220 44000005
	ds_read_b32 v69, v5 offset:25376                           // 000000008A6C: D86C6320 45000005
	ds_read_b32 v70, v5 offset:21032                           // 000000008A74: D86C5228 46000005
	ds_read_b32 v71, v5 offset:25384                           // 000000008A7C: D86C6328 47000005
	s_waitcnt vmcnt(13)                                        // 000000008A84: BF8C0F7D
	v_mfma_f32_16x16x128_f8f6f4 v[208:211], a[16:23], v[128:135], 0// 000000008A88: D3AD00D0 0A030110
	buffer_load_dwordx4 a[80:83], v44, s[12:15], 0 offen       // 000000008A90: E05C1000 8083502C
	buffer_load_dwordx4 a[84:87], v44, s[12:15], 0 offen offset:1024// 000000008A98: E05C1400 8083542C
	v_mfma_f32_16x16x128_f8f6f4 v[212:215], a[16:23], v[144:151], 0// 000000008AA0: D3AD00D4 0A032110
	ds_read_b32 v72, v5 offset:29696                           // 000000008AA8: D86C7400 48000005
	ds_read_b32 v73, v5 offset:34048                           // 000000008AB0: D86C8500 49000005
	ds_read_b32 v74, v5 offset:29704                           // 000000008AB8: D86C7408 4A000005
	ds_read_b32 v75, v5 offset:34056                           // 000000008AC0: D86C8508 4B000005
	v_mfma_f32_16x16x128_f8f6f4 v[216:219], a[24:31], v[128:135], 0// 000000008AC8: D3AD00D8 0A030118
	buffer_load_dwordx4 a[88:91], v45, s[12:15], 0 offen       // 000000008AD0: E05C1000 8083582D
	buffer_load_dwordx4 a[92:95], v45, s[12:15], 0 offen offset:1024// 000000008AD8: E05C1400 80835C2D
	s_add_u32 s12, s78, s12                                    // 000000008AE0: 800C0C4E
	s_addc_u32 s13, 0, s13                                     // 000000008AE4: 820D0D80
	v_mfma_f32_16x16x128_f8f6f4 v[220:223], a[24:31], v[144:151], 0// 000000008AE8: D3AD00DC 0A032118
	ds_read_b32 v76, v5 offset:29728                           // 000000008AF0: D86C7420 4C000005
	ds_read_b32 v77, v5 offset:34080                           // 000000008AF8: D86C8520 4D000005
	ds_read_b32 v78, v5 offset:29736                           // 000000008B00: D86C7428 4E000005
	ds_read_b32 v79, v5 offset:34088                           // 000000008B08: D86C8528 4F000005
	v_mul_f32_dpp v50, v23, v32 row_newbcast:0 row_mask:0xf bank_mask:0xf// 000000008B10: 0A6440FA FF015017
	v_mov_b32_e32 v51, v50                                     // 000000008B18: 7E660332
	v_pk_mul_f32 v[192:193], v[50:51], v[192:193]              // 000000008B1C: D3B140C0 18038132
	v_pk_mul_f32 v[194:195], v[50:51], v[194:195]              // 000000008B24: D3B140C2 18038532
	v_pk_mul_f32 v[200:201], v[50:51], v[200:201]              // 000000008B2C: D3B140C8 18039132
	v_pk_mul_f32 v[202:203], v[50:51], v[202:203]              // 000000008B34: D3B140CA 18039532
	v_mul_f32_dpp v50, v23, v32 row_newbcast:1 row_mask:0xf bank_mask:0xf// 000000008B3C: 0A6440FA FF015117
	v_mov_b32_e32 v51, v50                                     // 000000008B44: 7E660332
	v_pk_mul_f32 v[208:209], v[50:51], v[208:209]              // 000000008B48: D3B140D0 1803A132
	v_pk_mul_f32 v[210:211], v[50:51], v[210:211]              // 000000008B50: D3B140D2 1803A532
	v_pk_mul_f32 v[216:217], v[50:51], v[216:217]              // 000000008B58: D3B140D8 1803B132
	v_pk_mul_f32 v[218:219], v[50:51], v[218:219]              // 000000008B60: D3B140DA 1803B532
	v_mul_f32_dpp v50, v23, v33 row_newbcast:0 row_mask:0xf bank_mask:0xf// 000000008B68: 0A6442FA FF015017
	v_mov_b32_e32 v51, v50                                     // 000000008B70: 7E660332
	v_pk_mul_f32 v[196:197], v[50:51], v[196:197]              // 000000008B74: D3B140C4 18038932
	v_pk_mul_f32 v[198:199], v[50:51], v[198:199]              // 000000008B7C: D3B140C6 18038D32
	v_pk_mul_f32 v[204:205], v[50:51], v[204:205]              // 000000008B84: D3B140CC 18039932
	v_pk_mul_f32 v[206:207], v[50:51], v[206:207]              // 000000008B8C: D3B140CE 18039D32
	v_mul_f32_dpp v50, v23, v33 row_newbcast:1 row_mask:0xf bank_mask:0xf// 000000008B94: 0A6442FA FF015117
	v_mov_b32_e32 v51, v50                                     // 000000008B9C: 7E660332
	v_pk_mul_f32 v[212:213], v[50:51], v[212:213]              // 000000008BA0: D3B140D4 1803A932
	v_pk_mul_f32 v[214:215], v[50:51], v[214:215]              // 000000008BA8: D3B140D6 1803AD32
	v_pk_mul_f32 v[220:221], v[50:51], v[220:221]              // 000000008BB0: D3B140DC 1803B932
	v_pk_mul_f32 v[222:223], v[50:51], v[222:223]              // 000000008BB8: D3B140DE 1803BD32
	s_waitcnt vmcnt(13)                                        // 000000008BC0: BF8C0F7D
	v_mfma_f32_16x16x128_f8f6f4 v[160:163], a[32:39], v[136:143], 0// 000000008BC4: D3AD00A0 0A031120
	buffer_load_dwordx4 a[96:99], v42, s[12:15], 0 offen       // 000000008BCC: E05C1000 8083602A
	buffer_load_dwordx4 a[100:103], v42, s[12:15], 0 offen offset:1024// 000000008BD4: E05C1400 8083642A
	v_mfma_f32_16x16x128_f8f6f4 v[164:167], a[32:39], v[152:159], 0// 000000008BDC: D3AD00A4 0A033120
	ds_write_b64 v4, v[224:225] offset:38400                   // 000000008BE4: D89A9600 0000E004
	ds_write_b64 v4, v[226:227] offset:47104                   // 000000008BEC: D89AB800 0000E204
	v_mfma_f32_16x16x128_f8f6f4 v[168:171], a[40:47], v[136:143], 0// 000000008BF4: D3AD00A8 0A031128
	buffer_load_dwordx4 a[104:107], v43, s[12:15], 0 offen     // 000000008BFC: E05C1000 8083682B
	buffer_load_dwordx4 a[108:111], v43, s[12:15], 0 offen offset:1024// 000000008C04: E05C1400 80836C2B
	v_mfma_f32_16x16x128_f8f6f4 v[172:175], a[40:47], v[152:159], 0// 000000008C0C: D3AD00AC 0A033128
	ds_write_b64 v4, v[228:229] offset:40576                   // 000000008C14: D89A9E80 0000E404
	ds_write_b64 v4, v[230:231] offset:49280                   // 000000008C1C: D89AC080 0000E604
	s_waitcnt vmcnt(13)                                        // 000000008C24: BF8C0F7D
	v_mfma_f32_16x16x128_f8f6f4 v[176:179], a[48:55], v[136:143], 0// 000000008C28: D3AD00B0 0A031130
	buffer_load_dwordx4 a[112:115], v44, s[12:15], 0 offen     // 000000008C30: E05C1000 8083702C
	buffer_load_dwordx4 a[116:119], v44, s[12:15], 0 offen offset:1024// 000000008C38: E05C1400 8083742C
	v_mfma_f32_16x16x128_f8f6f4 v[180:183], a[48:55], v[152:159], 0// 000000008C40: D3AD00B4 0A033130
	ds_write_b64 v4, v[232:233] offset:42752                   // 000000008C48: D89AA700 0000E804
	ds_write_b64 v4, v[234:235] offset:51456                   // 000000008C50: D89AC900 0000EA04
	v_mfma_f32_16x16x128_f8f6f4 v[184:187], a[56:63], v[136:143], 0// 000000008C58: D3AD00B8 0A031138
	buffer_load_dwordx4 a[120:123], v45, s[12:15], 0 offen     // 000000008C60: E05C1000 8083782D
	buffer_load_dwordx4 a[124:127], v45, s[12:15], 0 offen offset:1024// 000000008C68: E05C1400 80837C2D
	v_mfma_f32_16x16x128_f8f6f4 v[188:191], a[56:63], v[152:159], 0// 000000008C70: D3AD00BC 0A033138
	ds_write_b64 v4, v[236:237] offset:44928                   // 000000008C78: D89AAF80 0000EC04
	ds_write_b64 v4, v[238:239] offset:53632                   // 000000008C80: D89AD180 0000EE04
	v_mul_f32_dpp v50, v23, v34 row_newbcast:2 row_mask:0xf bank_mask:0xf// 000000008C88: 0A6444FA FF015217
	v_mov_b32_e32 v51, v50                                     // 000000008C90: 7E660332
	v_pk_fma_f32 v[192:193], v[160:161], v[50:51], v[192:193]  // 000000008C94: D3B040C0 1F0265A0
	v_pk_fma_f32 v[194:195], v[162:163], v[50:51], v[194:195]  // 000000008C9C: D3B040C2 1F0A65A2
	v_pk_fma_f32 v[200:201], v[168:169], v[50:51], v[200:201]  // 000000008CA4: D3B040C8 1F2265A8
	v_pk_fma_f32 v[202:203], v[170:171], v[50:51], v[202:203]  // 000000008CAC: D3B040CA 1F2A65AA
	v_mul_f32_dpp v50, v23, v34 row_newbcast:3 row_mask:0xf bank_mask:0xf// 000000008CB4: 0A6444FA FF015317
	v_mov_b32_e32 v51, v50                                     // 000000008CBC: 7E660332
	v_pk_fma_f32 v[208:209], v[176:177], v[50:51], v[208:209]  // 000000008CC0: D3B040D0 1F4265B0
	v_pk_fma_f32 v[210:211], v[178:179], v[50:51], v[210:211]  // 000000008CC8: D3B040D2 1F4A65B2
	v_pk_fma_f32 v[216:217], v[184:185], v[50:51], v[216:217]  // 000000008CD0: D3B040D8 1F6265B8
	v_pk_fma_f32 v[218:219], v[186:187], v[50:51], v[218:219]  // 000000008CD8: D3B040DA 1F6A65BA
	v_mul_f32_dpp v50, v23, v35 row_newbcast:2 row_mask:0xf bank_mask:0xf// 000000008CE0: 0A6446FA FF015217
	v_mov_b32_e32 v51, v50                                     // 000000008CE8: 7E660332
	v_pk_fma_f32 v[196:197], v[164:165], v[50:51], v[196:197]  // 000000008CEC: D3B040C4 1F1265A4
	v_pk_fma_f32 v[198:199], v[166:167], v[50:51], v[198:199]  // 000000008CF4: D3B040C6 1F1A65A6
	v_pk_fma_f32 v[204:205], v[172:173], v[50:51], v[204:205]  // 000000008CFC: D3B040CC 1F3265AC
	v_pk_fma_f32 v[206:207], v[174:175], v[50:51], v[206:207]  // 000000008D04: D3B040CE 1F3A65AE
	v_mul_f32_dpp v50, v23, v35 row_newbcast:3 row_mask:0xf bank_mask:0xf// 000000008D0C: 0A6446FA FF015317
	v_mov_b32_e32 v51, v50                                     // 000000008D14: 7E660332
	v_pk_fma_f32 v[212:213], v[180:181], v[50:51], v[212:213]  // 000000008D18: D3B040D4 1F5265B4
	v_pk_fma_f32 v[214:215], v[182:183], v[50:51], v[214:215]  // 000000008D20: D3B040D6 1F5A65B6
	v_pk_fma_f32 v[220:221], v[188:189], v[50:51], v[220:221]  // 000000008D28: D3B040DC 1F7265BC
	v_pk_fma_f32 v[222:223], v[190:191], v[50:51], v[222:223]  // 000000008D30: D3B040DE 1F7A65BE
	s_add_u32 s60, 0x200, s80                                  // 000000008D38: 803C50FF 00000200
	s_cmp_lt_u32 s60, s81                                      // 000000008D40: BF0A513C
	s_cselect_b32 s56, s56, 0                                  // 000000008D44: 85388038
	s_cselect_b32 s78, s78, 0                                  // 000000008D48: 854E804E
	s_cselect_b32 s79, s79, 0                                  // 000000008D4C: 854F804F
	s_add_u32 s12, s56, s12                                    // 000000008D50: 800C0C38
	s_addc_u32 s13, 0, s13                                     // 000000008D54: 820D0D80
	s_add_u32 s16, s79, s16                                    // 000000008D58: 8010104F
	s_addc_u32 s17, 0, s17                                     // 000000008D5C: 82111180
	v_mov_b32_e32 v50, v25                                     // 000000008D60: 7E640319
	v_mov_b32_e32 v51, v25                                     // 000000008D64: 7E660319
	v_pk_mul_f32 v[192:193], v[50:51], v[192:193]              // 000000008D68: D3B140C0 18038132
	v_pk_mul_f32 v[194:195], v[50:51], v[194:195]              // 000000008D70: D3B140C2 18038532
	v_pk_mul_f32 v[200:201], v[50:51], v[200:201]              // 000000008D78: D3B140C8 18039132
	v_pk_mul_f32 v[202:203], v[50:51], v[202:203]              // 000000008D80: D3B140CA 18039532
	v_pk_mul_f32 v[208:209], v[50:51], v[208:209]              // 000000008D88: D3B140D0 1803A132
	v_pk_mul_f32 v[210:211], v[50:51], v[210:211]              // 000000008D90: D3B140D2 1803A532
	v_pk_mul_f32 v[216:217], v[50:51], v[216:217]              // 000000008D98: D3B140D8 1803B132
	v_pk_mul_f32 v[218:219], v[50:51], v[218:219]              // 000000008DA0: D3B140DA 1803B532
	v_mov_b32_e32 v50, v26                                     // 000000008DA8: 7E64031A
	v_mov_b32_e32 v51, v26                                     // 000000008DAC: 7E66031A
	v_pk_mul_f32 v[196:197], v[50:51], v[196:197]              // 000000008DB0: D3B140C4 18038932
	v_pk_mul_f32 v[198:199], v[50:51], v[198:199]              // 000000008DB8: D3B140C6 18038D32
	v_pk_mul_f32 v[204:205], v[50:51], v[204:205]              // 000000008DC0: D3B140CC 18039932
	v_pk_mul_f32 v[206:207], v[50:51], v[206:207]              // 000000008DC8: D3B140CE 18039D32
	v_pk_mul_f32 v[212:213], v[50:51], v[212:213]              // 000000008DD0: D3B140D4 1803A932
	v_pk_mul_f32 v[214:215], v[50:51], v[214:215]              // 000000008DD8: D3B140D6 1803AD32
	v_pk_mul_f32 v[220:221], v[50:51], v[220:221]              // 000000008DE0: D3B140DC 1803B932
	v_pk_mul_f32 v[222:223], v[50:51], v[222:223]              // 000000008DE8: D3B140DE 1803BD32
	v_cvt_pk_bf16_f32 v192, v192, v193                         // 000000008DF0: D26800C0 000383C0
	v_cvt_pk_bf16_f32 v193, v194, v195                         // 000000008DF8: D26800C1 000387C2
	v_cvt_pk_bf16_f32 v194, v196, v197                         // 000000008E00: D26800C2 00038BC4
	v_cvt_pk_bf16_f32 v195, v198, v199                         // 000000008E08: D26800C3 00038FC6
	v_cvt_pk_bf16_f32 v196, v200, v201                         // 000000008E10: D26800C4 000393C8
	v_cvt_pk_bf16_f32 v197, v202, v203                         // 000000008E18: D26800C5 000397CA
	v_cvt_pk_bf16_f32 v198, v204, v205                         // 000000008E20: D26800C6 00039BCC
	v_cvt_pk_bf16_f32 v199, v206, v207                         // 000000008E28: D26800C7 00039FCE
	v_cvt_pk_bf16_f32 v200, v208, v209                         // 000000008E30: D26800C8 0003A3D0
	v_cvt_pk_bf16_f32 v201, v210, v211                         // 000000008E38: D26800C9 0003A7D2
	v_cvt_pk_bf16_f32 v202, v212, v213                         // 000000008E40: D26800CA 0003ABD4
	v_cvt_pk_bf16_f32 v203, v214, v215                         // 000000008E48: D26800CB 0003AFD6
	v_cvt_pk_bf16_f32 v204, v216, v217                         // 000000008E50: D26800CC 0003B3D8
	v_cvt_pk_bf16_f32 v205, v218, v219                         // 000000008E58: D26800CD 0003B7DA
	v_cvt_pk_bf16_f32 v206, v220, v221                         // 000000008E60: D26800CE 0003BBDC
	v_cvt_pk_bf16_f32 v207, v222, v223                         // 000000008E68: D26800CF 0003BFDE
	s_cmp_ge_u32 s80, 0x200                                    // 000000008E70: BF09FF50 00000200
	s_cselect_b32 s59, 0x200, s59                              // 000000008E78: 853B3BFF 00000200
	s_setvskip s20, 0                                          // 000000008E80: BF108014
	global_atomic_pk_add_bf16 v80, v64, s[8:9]                 // 000000008E84: DD488000 00084050
	s_setvskip 0, 0                                            // 000000008E8C: BF108080
	s_setvskip s20, 0                                          // 000000008E90: BF108014
	global_atomic_pk_add_bf16 v80, v65, s[8:9] offset:256      // 000000008E94: DD488100 00084150
	s_setvskip 0, 0                                            // 000000008E9C: BF108080
	s_setvskip s20, 1                                          // 000000008EA0: BF108114
	global_atomic_pk_add_bf16 v82, v66, s[8:9]                 // 000000008EA4: DD488000 00084252
	s_setvskip 0, 0                                            // 000000008EAC: BF108080
	s_setvskip s20, 1                                          // 000000008EB0: BF108114
	global_atomic_pk_add_bf16 v82, v67, s[8:9] offset:256      // 000000008EB4: DD488100 00084352
	s_setvskip 0, 0                                            // 000000008EBC: BF108080
	s_setvskip s20, 2                                          // 000000008EC0: BF108214
	global_atomic_pk_add_bf16 v84, v68, s[8:9]                 // 000000008EC4: DD488000 00084454
	s_setvskip 0, 0                                            // 000000008ECC: BF108080
	s_setvskip s20, 2                                          // 000000008ED0: BF108214
	global_atomic_pk_add_bf16 v84, v69, s[8:9] offset:256      // 000000008ED4: DD488100 00084554
	s_setvskip 0, 0                                            // 000000008EDC: BF108080
	s_setvskip s20, 3                                          // 000000008EE0: BF108314
	global_atomic_pk_add_bf16 v86, v70, s[8:9]                 // 000000008EE4: DD488000 00084656
	s_setvskip 0, 0                                            // 000000008EEC: BF108080
	s_setvskip s20, 3                                          // 000000008EF0: BF108314
	global_atomic_pk_add_bf16 v86, v71, s[8:9] offset:256      // 000000008EF4: DD488100 00084756
	s_setvskip 0, 0                                            // 000000008EFC: BF108080
	s_setvskip s20, 4                                          // 000000008F00: BF108414
	global_atomic_pk_add_bf16 v88, v72, s[8:9]                 // 000000008F04: DD488000 00084858
	s_setvskip 0, 0                                            // 000000008F0C: BF108080
	s_setvskip s20, 4                                          // 000000008F10: BF108414
	global_atomic_pk_add_bf16 v88, v73, s[8:9] offset:256      // 000000008F14: DD488100 00084958
	s_setvskip 0, 0                                            // 000000008F1C: BF108080
	s_setvskip s20, 5                                          // 000000008F20: BF108514
	global_atomic_pk_add_bf16 v90, v74, s[8:9]                 // 000000008F24: DD488000 00084A5A
	s_setvskip 0, 0                                            // 000000008F2C: BF108080
	s_setvskip s20, 5                                          // 000000008F30: BF108514
	global_atomic_pk_add_bf16 v90, v75, s[8:9] offset:256      // 000000008F34: DD488100 00084B5A
	s_setvskip 0, 0                                            // 000000008F3C: BF108080
	s_setvskip s20, 6                                          // 000000008F40: BF108614
	global_atomic_pk_add_bf16 v92, v76, s[8:9]                 // 000000008F44: DD488000 00084C5C
	s_setvskip 0, 0                                            // 000000008F4C: BF108080
	s_setvskip s20, 6                                          // 000000008F50: BF108614
	global_atomic_pk_add_bf16 v92, v77, s[8:9] offset:256      // 000000008F54: DD488100 00084D5C
	s_setvskip 0, 0                                            // 000000008F5C: BF108080
	s_setvskip s20, 7                                          // 000000008F60: BF108714
	global_atomic_pk_add_bf16 v94, v78, s[8:9]                 // 000000008F64: DD488000 00084E5E
	s_setvskip 0, 0                                            // 000000008F6C: BF108080
	s_setvskip s20, 7                                          // 000000008F70: BF108714
	global_atomic_pk_add_bf16 v94, v79, s[8:9] offset:256      // 000000008F74: DD488100 00084F5E
	s_setvskip 0, 0                                            // 000000008F7C: BF108080
	s_add_u32 s8, s59, s8                                      // 000000008F80: 8008083B
	s_addc_u32 s9, 0, s9                                       // 000000008F84: 82090980
	s_addk_i32 s80, 0x100                                      // 000000008F88: B7500100
	s_cmp_lt_i32 s80, s81                                      // 000000008F8C: BF045150
	s_cbranch_scc0 label_0EFB                                  // 000000008F90: BF84F696
	s_waitcnt vmcnt(12) lgkmcnt(0)                             // 000000008F94: BF8C007C
	s_barrier                                                  // 000000008F98: BF8A0000
	v_mfma_f32_16x16x128_f8f6f4 v[224:227], a[64:71], v[128:135], 0// 000000008F9C: D3AD00E0 0A030140
	buffer_load_dwordx4 a[0:3], v42, s[12:15], 0 offen         // 000000008FA4: E05C1000 8083002A
	buffer_load_dwordx4 a[4:7], v42, s[12:15], 0 offen offset:1024// 000000008FAC: E05C1400 8083042A
	v_mfma_f32_16x16x128_f8f6f4 v[228:231], a[64:71], v[144:151], 0// 000000008FB4: D3AD00E4 0A032140
	ds_read_b32 v64, v5 offset:38400                           // 000000008FBC: D86C9600 40000005
	ds_read_b32 v65, v5 offset:42752                           // 000000008FC4: D86CA700 41000005
	ds_read_b32 v66, v5 offset:38408                           // 000000008FCC: D86C9608 42000005
	ds_read_b32 v67, v5 offset:42760                           // 000000008FD4: D86CA708 43000005
	v_mfma_f32_16x16x128_f8f6f4 v[232:235], a[72:79], v[128:135], 0// 000000008FDC: D3AD00E8 0A030148
	buffer_load_dwordx4 a[8:11], v43, s[12:15], 0 offen        // 000000008FE4: E05C1000 8083082B
	buffer_load_dwordx4 a[12:15], v43, s[12:15], 0 offen offset:1024// 000000008FEC: E05C1400 80830C2B
	buffer_load_dword v23, v6, s[16:19], 0 offen               // 000000008FF4: E0501000 80041706
	v_mfma_f32_16x16x128_f8f6f4 v[236:239], a[72:79], v[144:151], 0// 000000008FFC: D3AD00EC 0A032148
	ds_read_b32 v68, v5 offset:38432                           // 000000009004: D86C9620 44000005
	ds_read_b32 v69, v5 offset:42784                           // 00000000900C: D86CA720 45000005
	ds_read_b32 v70, v5 offset:38440                           // 000000009014: D86C9628 46000005
	ds_read_b32 v71, v5 offset:42792                           // 00000000901C: D86CA728 47000005
	s_waitcnt vmcnt(13)                                        // 000000009024: BF8C0F7D
	v_mfma_f32_16x16x128_f8f6f4 v[240:243], a[80:87], v[128:135], 0// 000000009028: D3AD00F0 0A030150
	buffer_load_dwordx4 a[16:19], v44, s[12:15], 0 offen       // 000000009030: E05C1000 8083102C
	buffer_load_dwordx4 a[20:23], v44, s[12:15], 0 offen offset:1024// 000000009038: E05C1400 8083142C
	v_mfma_f32_16x16x128_f8f6f4 v[244:247], a[80:87], v[144:151], 0// 000000009040: D3AD00F4 0A032150
	ds_read_b32 v72, v5 offset:47104                           // 000000009048: D86CB800 48000005
	ds_read_b32 v73, v5 offset:51456                           // 000000009050: D86CC900 49000005
	ds_read_b32 v74, v5 offset:47112                           // 000000009058: D86CB808 4A000005
	ds_read_b32 v75, v5 offset:51464                           // 000000009060: D86CC908 4B000005
	v_mfma_f32_16x16x128_f8f6f4 v[248:251], a[88:95], v[128:135], 0// 000000009068: D3AD00F8 0A030158
	buffer_load_dwordx4 a[24:27], v45, s[12:15], 0 offen       // 000000009070: E05C1000 8083182D
	buffer_load_dwordx4 a[28:31], v45, s[12:15], 0 offen offset:1024// 000000009078: E05C1400 80831C2D
	s_add_u32 s12, s78, s12                                    // 000000009080: 800C0C4E
	s_addc_u32 s13, 0, s13                                     // 000000009084: 820D0D80
	v_mfma_f32_16x16x128_f8f6f4 v[252:255], a[88:95], v[144:151], 0// 000000009088: D3AD00FC 0A032158
	ds_read_b32 v76, v5 offset:47136                           // 000000009090: D86CB820 4C000005
	ds_read_b32 v77, v5 offset:51488                           // 000000009098: D86CC920 4D000005
	ds_read_b32 v78, v5 offset:47144                           // 0000000090A0: D86CB828 4E000005
	ds_read_b32 v79, v5 offset:51496                           // 0000000090A8: D86CC928 4F000005
	v_mul_f32_dpp v50, v24, v32 row_newbcast:0 row_mask:0xf bank_mask:0xf// 0000000090B0: 0A6440FA FF015018
	v_mov_b32_e32 v51, v50                                     // 0000000090B8: 7E660332
	v_pk_mul_f32 v[224:225], v[50:51], v[224:225]              // 0000000090BC: D3B140E0 1803C132
	v_pk_mul_f32 v[226:227], v[50:51], v[226:227]              // 0000000090C4: D3B140E2 1803C532
	v_pk_mul_f32 v[232:233], v[50:51], v[232:233]              // 0000000090CC: D3B140E8 1803D132
	v_pk_mul_f32 v[234:235], v[50:51], v[234:235]              // 0000000090D4: D3B140EA 1803D532
	v_mul_f32_dpp v50, v24, v32 row_newbcast:1 row_mask:0xf bank_mask:0xf// 0000000090DC: 0A6440FA FF015118
	v_mov_b32_e32 v51, v50                                     // 0000000090E4: 7E660332
	v_pk_mul_f32 v[240:241], v[50:51], v[240:241]              // 0000000090E8: D3B140F0 1803E132
	v_pk_mul_f32 v[242:243], v[50:51], v[242:243]              // 0000000090F0: D3B140F2 1803E532
	v_pk_mul_f32 v[248:249], v[50:51], v[248:249]              // 0000000090F8: D3B140F8 1803F132
	v_pk_mul_f32 v[250:251], v[50:51], v[250:251]              // 000000009100: D3B140FA 1803F532
	v_mul_f32_dpp v50, v24, v33 row_newbcast:0 row_mask:0xf bank_mask:0xf// 000000009108: 0A6442FA FF015018
	v_mov_b32_e32 v51, v50                                     // 000000009110: 7E660332
	v_pk_mul_f32 v[228:229], v[50:51], v[228:229]              // 000000009114: D3B140E4 1803C932
	v_pk_mul_f32 v[230:231], v[50:51], v[230:231]              // 00000000911C: D3B140E6 1803CD32
	v_pk_mul_f32 v[236:237], v[50:51], v[236:237]              // 000000009124: D3B140EC 1803D932
	v_pk_mul_f32 v[238:239], v[50:51], v[238:239]              // 00000000912C: D3B140EE 1803DD32
	v_mul_f32_dpp v50, v24, v33 row_newbcast:1 row_mask:0xf bank_mask:0xf// 000000009134: 0A6442FA FF015118
	v_mov_b32_e32 v51, v50                                     // 00000000913C: 7E660332
	v_pk_mul_f32 v[244:245], v[50:51], v[244:245]              // 000000009140: D3B140F4 1803E932
	v_pk_mul_f32 v[246:247], v[50:51], v[246:247]              // 000000009148: D3B140F6 1803ED32
	v_pk_mul_f32 v[252:253], v[50:51], v[252:253]              // 000000009150: D3B140FC 1803F932
	v_pk_mul_f32 v[254:255], v[50:51], v[254:255]              // 000000009158: D3B140FE 1803FD32
	s_waitcnt vmcnt(13)                                        // 000000009160: BF8C0F7D
	v_mfma_f32_16x16x128_f8f6f4 v[160:163], a[96:103], v[136:143], 0// 000000009164: D3AD00A0 0A031160
	buffer_load_dwordx4 a[32:35], v42, s[12:15], 0 offen       // 00000000916C: E05C1000 8083202A
	buffer_load_dwordx4 a[36:39], v42, s[12:15], 0 offen offset:1024// 000000009174: E05C1400 8083242A
	v_mfma_f32_16x16x128_f8f6f4 v[164:167], a[96:103], v[152:159], 0// 00000000917C: D3AD00A4 0A033160
	ds_write_b64 v4, v[192:193] offset:20992                   // 000000009184: D89A5200 0000C004
	ds_write_b64 v4, v[194:195] offset:29696                   // 00000000918C: D89A7400 0000C204
	v_mfma_f32_16x16x128_f8f6f4 v[168:171], a[104:111], v[136:143], 0// 000000009194: D3AD00A8 0A031168
	buffer_load_dwordx4 a[40:43], v43, s[12:15], 0 offen       // 00000000919C: E05C1000 8083282B
	buffer_load_dwordx4 a[44:47], v43, s[12:15], 0 offen offset:1024// 0000000091A4: E05C1400 80832C2B
	v_mfma_f32_16x16x128_f8f6f4 v[172:175], a[104:111], v[152:159], 0// 0000000091AC: D3AD00AC 0A033168
	ds_write_b64 v4, v[196:197] offset:23168                   // 0000000091B4: D89A5A80 0000C404
	ds_write_b64 v4, v[198:199] offset:31872                   // 0000000091BC: D89A7C80 0000C604
	s_waitcnt vmcnt(13)                                        // 0000000091C4: BF8C0F7D
	v_mfma_f32_16x16x128_f8f6f4 v[176:179], a[112:119], v[136:143], 0// 0000000091C8: D3AD00B0 0A031170
	buffer_load_dwordx4 a[48:51], v44, s[12:15], 0 offen       // 0000000091D0: E05C1000 8083302C
	buffer_load_dwordx4 a[52:55], v44, s[12:15], 0 offen offset:1024// 0000000091D8: E05C1400 8083342C
	v_mfma_f32_16x16x128_f8f6f4 v[180:183], a[112:119], v[152:159], 0// 0000000091E0: D3AD00B4 0A033170
	ds_write_b64 v4, v[200:201] offset:25344                   // 0000000091E8: D89A6300 0000C804
	ds_write_b64 v4, v[202:203] offset:34048                   // 0000000091F0: D89A8500 0000CA04
	v_mfma_f32_16x16x128_f8f6f4 v[184:187], a[120:127], v[136:143], 0// 0000000091F8: D3AD00B8 0A031178
	buffer_load_dwordx4 a[56:59], v45, s[12:15], 0 offen       // 000000009200: E05C1000 8083382D
	buffer_load_dwordx4 a[60:63], v45, s[12:15], 0 offen offset:1024// 000000009208: E05C1400 80833C2D
	v_mfma_f32_16x16x128_f8f6f4 v[188:191], a[120:127], v[152:159], 0// 000000009210: D3AD00BC 0A033178
	ds_write_b64 v4, v[204:205] offset:27520                   // 000000009218: D89A6B80 0000CC04
	ds_write_b64 v4, v[206:207] offset:36224                   // 000000009220: D89A8D80 0000CE04
	v_mul_f32_dpp v50, v24, v34 row_newbcast:2 row_mask:0xf bank_mask:0xf// 000000009228: 0A6444FA FF015218
	v_mov_b32_e32 v51, v50                                     // 000000009230: 7E660332
	v_pk_fma_f32 v[224:225], v[160:161], v[50:51], v[224:225]  // 000000009234: D3B040E0 1F8265A0
	v_pk_fma_f32 v[226:227], v[162:163], v[50:51], v[226:227]  // 00000000923C: D3B040E2 1F8A65A2
	v_pk_fma_f32 v[232:233], v[168:169], v[50:51], v[232:233]  // 000000009244: D3B040E8 1FA265A8
	v_pk_fma_f32 v[234:235], v[170:171], v[50:51], v[234:235]  // 00000000924C: D3B040EA 1FAA65AA
	v_mul_f32_dpp v50, v24, v34 row_newbcast:3 row_mask:0xf bank_mask:0xf// 000000009254: 0A6444FA FF015318
	v_mov_b32_e32 v51, v50                                     // 00000000925C: 7E660332
	v_pk_fma_f32 v[240:241], v[176:177], v[50:51], v[240:241]  // 000000009260: D3B040F0 1FC265B0
	v_pk_fma_f32 v[242:243], v[178:179], v[50:51], v[242:243]  // 000000009268: D3B040F2 1FCA65B2
	v_pk_fma_f32 v[248:249], v[184:185], v[50:51], v[248:249]  // 000000009270: D3B040F8 1FE265B8
	v_pk_fma_f32 v[250:251], v[186:187], v[50:51], v[250:251]  // 000000009278: D3B040FA 1FEA65BA
	v_mul_f32_dpp v50, v24, v35 row_newbcast:2 row_mask:0xf bank_mask:0xf// 000000009280: 0A6446FA FF015218
	v_mov_b32_e32 v51, v50                                     // 000000009288: 7E660332
	v_pk_fma_f32 v[228:229], v[164:165], v[50:51], v[228:229]  // 00000000928C: D3B040E4 1F9265A4
	v_pk_fma_f32 v[230:231], v[166:167], v[50:51], v[230:231]  // 000000009294: D3B040E6 1F9A65A6
	v_pk_fma_f32 v[236:237], v[172:173], v[50:51], v[236:237]  // 00000000929C: D3B040EC 1FB265AC
	v_pk_fma_f32 v[238:239], v[174:175], v[50:51], v[238:239]  // 0000000092A4: D3B040EE 1FBA65AE
	v_mul_f32_dpp v50, v24, v35 row_newbcast:3 row_mask:0xf bank_mask:0xf// 0000000092AC: 0A6446FA FF015318
	v_mov_b32_e32 v51, v50                                     // 0000000092B4: 7E660332
	v_pk_fma_f32 v[244:245], v[180:181], v[50:51], v[244:245]  // 0000000092B8: D3B040F4 1FD265B4
	v_pk_fma_f32 v[246:247], v[182:183], v[50:51], v[246:247]  // 0000000092C0: D3B040F6 1FDA65B6
	v_pk_fma_f32 v[252:253], v[188:189], v[50:51], v[252:253]  // 0000000092C8: D3B040FC 1FF265BC
	v_pk_fma_f32 v[254:255], v[190:191], v[50:51], v[254:255]  // 0000000092D0: D3B040FE 1FFA65BE
	s_add_u32 s60, 0x200, s80                                  // 0000000092D8: 803C50FF 00000200
	s_cmp_lt_u32 s60, s81                                      // 0000000092E0: BF0A513C
	s_cselect_b32 s56, s56, 0                                  // 0000000092E4: 85388038
	s_cselect_b32 s78, s78, 0                                  // 0000000092E8: 854E804E
	s_cselect_b32 s79, s79, 0                                  // 0000000092EC: 854F804F
	s_add_u32 s12, s56, s12                                    // 0000000092F0: 800C0C38
	s_addc_u32 s13, 0, s13                                     // 0000000092F4: 820D0D80
	s_add_u32 s16, s79, s16                                    // 0000000092F8: 8010104F
	s_addc_u32 s17, 0, s17                                     // 0000000092FC: 82111180
	v_mov_b32_e32 v50, v25                                     // 000000009300: 7E640319
	v_mov_b32_e32 v51, v25                                     // 000000009304: 7E660319
	v_pk_mul_f32 v[224:225], v[50:51], v[224:225]              // 000000009308: D3B140E0 1803C132
	v_pk_mul_f32 v[226:227], v[50:51], v[226:227]              // 000000009310: D3B140E2 1803C532
	v_pk_mul_f32 v[232:233], v[50:51], v[232:233]              // 000000009318: D3B140E8 1803D132
	v_pk_mul_f32 v[234:235], v[50:51], v[234:235]              // 000000009320: D3B140EA 1803D532
	v_pk_mul_f32 v[240:241], v[50:51], v[240:241]              // 000000009328: D3B140F0 1803E132
	v_pk_mul_f32 v[242:243], v[50:51], v[242:243]              // 000000009330: D3B140F2 1803E532
	v_pk_mul_f32 v[248:249], v[50:51], v[248:249]              // 000000009338: D3B140F8 1803F132
	v_pk_mul_f32 v[250:251], v[50:51], v[250:251]              // 000000009340: D3B140FA 1803F532
	v_mov_b32_e32 v50, v26                                     // 000000009348: 7E64031A
	v_mov_b32_e32 v51, v26                                     // 00000000934C: 7E66031A
	v_pk_mul_f32 v[228:229], v[50:51], v[228:229]              // 000000009350: D3B140E4 1803C932
	v_pk_mul_f32 v[230:231], v[50:51], v[230:231]              // 000000009358: D3B140E6 1803CD32
	v_pk_mul_f32 v[236:237], v[50:51], v[236:237]              // 000000009360: D3B140EC 1803D932
	v_pk_mul_f32 v[238:239], v[50:51], v[238:239]              // 000000009368: D3B140EE 1803DD32
	v_pk_mul_f32 v[244:245], v[50:51], v[244:245]              // 000000009370: D3B140F4 1803E932
	v_pk_mul_f32 v[246:247], v[50:51], v[246:247]              // 000000009378: D3B140F6 1803ED32
	v_pk_mul_f32 v[252:253], v[50:51], v[252:253]              // 000000009380: D3B140FC 1803F932
	v_pk_mul_f32 v[254:255], v[50:51], v[254:255]              // 000000009388: D3B140FE 1803FD32
	v_cvt_pk_bf16_f32 v224, v224, v225                         // 000000009390: D26800E0 0003C3E0
	v_cvt_pk_bf16_f32 v225, v226, v227                         // 000000009398: D26800E1 0003C7E2
	v_cvt_pk_bf16_f32 v226, v228, v229                         // 0000000093A0: D26800E2 0003CBE4
	v_cvt_pk_bf16_f32 v227, v230, v231                         // 0000000093A8: D26800E3 0003CFE6
	v_cvt_pk_bf16_f32 v228, v232, v233                         // 0000000093B0: D26800E4 0003D3E8
	v_cvt_pk_bf16_f32 v229, v234, v235                         // 0000000093B8: D26800E5 0003D7EA
	v_cvt_pk_bf16_f32 v230, v236, v237                         // 0000000093C0: D26800E6 0003DBEC
	v_cvt_pk_bf16_f32 v231, v238, v239                         // 0000000093C8: D26800E7 0003DFEE
	v_cvt_pk_bf16_f32 v232, v240, v241                         // 0000000093D0: D26800E8 0003E3F0
	v_cvt_pk_bf16_f32 v233, v242, v243                         // 0000000093D8: D26800E9 0003E7F2
	v_cvt_pk_bf16_f32 v234, v244, v245                         // 0000000093E0: D26800EA 0003EBF4
	v_cvt_pk_bf16_f32 v235, v246, v247                         // 0000000093E8: D26800EB 0003EFF6
	v_cvt_pk_bf16_f32 v236, v248, v249                         // 0000000093F0: D26800EC 0003F3F8
	v_cvt_pk_bf16_f32 v237, v250, v251                         // 0000000093F8: D26800ED 0003F7FA
	v_cvt_pk_bf16_f32 v238, v252, v253                         // 000000009400: D26800EE 0003FBFC
	v_cvt_pk_bf16_f32 v239, v254, v255                         // 000000009408: D26800EF 0003FFFE
	s_cmp_ge_u32 s80, 0x200                                    // 000000009410: BF09FF50 00000200
	s_cselect_b32 s59, 0x200, s59                              // 000000009418: 853B3BFF 00000200
	s_setvskip s20, 0                                          // 000000009420: BF108014
	global_atomic_pk_add_bf16 v80, v64, s[8:9]                 // 000000009424: DD488000 00084050
	s_setvskip 0, 0                                            // 00000000942C: BF108080
	s_setvskip s20, 0                                          // 000000009430: BF108014
	global_atomic_pk_add_bf16 v80, v65, s[8:9] offset:256      // 000000009434: DD488100 00084150
	s_setvskip 0, 0                                            // 00000000943C: BF108080
	s_setvskip s20, 1                                          // 000000009440: BF108114
	global_atomic_pk_add_bf16 v82, v66, s[8:9]                 // 000000009444: DD488000 00084252
	s_setvskip 0, 0                                            // 00000000944C: BF108080
	s_setvskip s20, 1                                          // 000000009450: BF108114
	global_atomic_pk_add_bf16 v82, v67, s[8:9] offset:256      // 000000009454: DD488100 00084352
	s_setvskip 0, 0                                            // 00000000945C: BF108080
	s_setvskip s20, 2                                          // 000000009460: BF108214
	global_atomic_pk_add_bf16 v84, v68, s[8:9]                 // 000000009464: DD488000 00084454
	s_setvskip 0, 0                                            // 00000000946C: BF108080
	s_setvskip s20, 2                                          // 000000009470: BF108214
	global_atomic_pk_add_bf16 v84, v69, s[8:9] offset:256      // 000000009474: DD488100 00084554
	s_setvskip 0, 0                                            // 00000000947C: BF108080
	s_setvskip s20, 3                                          // 000000009480: BF108314
	global_atomic_pk_add_bf16 v86, v70, s[8:9]                 // 000000009484: DD488000 00084656
	s_setvskip 0, 0                                            // 00000000948C: BF108080
	s_setvskip s20, 3                                          // 000000009490: BF108314
	global_atomic_pk_add_bf16 v86, v71, s[8:9] offset:256      // 000000009494: DD488100 00084756
	s_setvskip 0, 0                                            // 00000000949C: BF108080
	s_setvskip s20, 4                                          // 0000000094A0: BF108414
	global_atomic_pk_add_bf16 v88, v72, s[8:9]                 // 0000000094A4: DD488000 00084858
	s_setvskip 0, 0                                            // 0000000094AC: BF108080
	s_setvskip s20, 4                                          // 0000000094B0: BF108414
	global_atomic_pk_add_bf16 v88, v73, s[8:9] offset:256      // 0000000094B4: DD488100 00084958
	s_setvskip 0, 0                                            // 0000000094BC: BF108080
	s_setvskip s20, 5                                          // 0000000094C0: BF108514
	global_atomic_pk_add_bf16 v90, v74, s[8:9]                 // 0000000094C4: DD488000 00084A5A
	s_setvskip 0, 0                                            // 0000000094CC: BF108080
	s_setvskip s20, 5                                          // 0000000094D0: BF108514
	global_atomic_pk_add_bf16 v90, v75, s[8:9] offset:256      // 0000000094D4: DD488100 00084B5A
	s_setvskip 0, 0                                            // 0000000094DC: BF108080
	s_setvskip s20, 6                                          // 0000000094E0: BF108614
	global_atomic_pk_add_bf16 v92, v76, s[8:9]                 // 0000000094E4: DD488000 00084C5C
	s_setvskip 0, 0                                            // 0000000094EC: BF108080
	s_setvskip s20, 6                                          // 0000000094F0: BF108614
	global_atomic_pk_add_bf16 v92, v77, s[8:9] offset:256      // 0000000094F4: DD488100 00084D5C
	s_setvskip 0, 0                                            // 0000000094FC: BF108080
	s_setvskip s20, 7                                          // 000000009500: BF108714
	global_atomic_pk_add_bf16 v94, v78, s[8:9]                 // 000000009504: DD488000 00084E5E
	s_setvskip 0, 0                                            // 00000000950C: BF108080
	s_setvskip s20, 7                                          // 000000009510: BF108714
	global_atomic_pk_add_bf16 v94, v79, s[8:9] offset:256      // 000000009514: DD488100 00084F5E
	s_setvskip 0, 0                                            // 00000000951C: BF108080
	s_add_u32 s8, s59, s8                                      // 000000009520: 8008083B
	s_addc_u32 s9, 0, s9                                       // 000000009524: 82090980
	s_addk_i32 s80, 0x100                                      // 000000009528: B7500100
	s_cmp_lt_i32 s80, s81                                      // 00000000952C: BF045150
	s_cbranch_scc0 label_0EFB                                  // 000000009530: BF84F52E
	s_branch label_16FD                                        // 000000009534: BF82FD2F

0000000000009538 <label_19CE>:
	s_cmp_ge_u32 s59, 0                                        // 000000009538: BF09803B
	s_cselect_b32 s59, 0x200, s59                              // 00000000953C: 853B3BFF 00000200
	s_waitcnt lgkmcnt(0)                                       // 000000009544: BF8CC07F
	s_barrier                                                  // 000000009548: BF8A0000
	s_cmp_eq_u32 s64, 0x100                                    // 00000000954C: BF06FF40 00000100
	s_cbranch_scc0 label_1A4A                                  // 000000009554: BF840074
	ds_write_b64 v4, v[192:193] offset:20992                   // 000000009558: D89A5200 0000C004
	ds_write_b64 v4, v[194:195] offset:29696                   // 000000009560: D89A7400 0000C204
	ds_write_b64 v4, v[196:197] offset:23168                   // 000000009568: D89A5A80 0000C404
	ds_write_b64 v4, v[198:199] offset:31872                   // 000000009570: D89A7C80 0000C604
	ds_write_b64 v4, v[200:201] offset:25344                   // 000000009578: D89A6300 0000C804
	ds_write_b64 v4, v[202:203] offset:34048                   // 000000009580: D89A8500 0000CA04
	ds_write_b64 v4, v[204:205] offset:27520                   // 000000009588: D89A6B80 0000CC04
	ds_write_b64 v4, v[206:207] offset:36224                   // 000000009590: D89A8D80 0000CE04
	s_waitcnt lgkmcnt(0)                                       // 000000009598: BF8CC07F
	s_barrier                                                  // 00000000959C: BF8A0000
	ds_read_b32 v64, v5 offset:20992                           // 0000000095A0: D86C5200 40000005
	ds_read_b32 v65, v5 offset:25344                           // 0000000095A8: D86C6300 41000005
	ds_read_b32 v66, v5 offset:21000                           // 0000000095B0: D86C5208 42000005
	ds_read_b32 v67, v5 offset:25352                           // 0000000095B8: D86C6308 43000005
	ds_read_b32 v68, v5 offset:21024                           // 0000000095C0: D86C5220 44000005
	ds_read_b32 v69, v5 offset:25376                           // 0000000095C8: D86C6320 45000005
	ds_read_b32 v70, v5 offset:21032                           // 0000000095D0: D86C5228 46000005
	ds_read_b32 v71, v5 offset:25384                           // 0000000095D8: D86C6328 47000005
	ds_read_b32 v72, v5 offset:29696                           // 0000000095E0: D86C7400 48000005
	ds_read_b32 v73, v5 offset:34048                           // 0000000095E8: D86C8500 49000005
	ds_read_b32 v74, v5 offset:29704                           // 0000000095F0: D86C7408 4A000005
	ds_read_b32 v75, v5 offset:34056                           // 0000000095F8: D86C8508 4B000005
	ds_read_b32 v76, v5 offset:29728                           // 000000009600: D86C7420 4C000005
	ds_read_b32 v77, v5 offset:34080                           // 000000009608: D86C8520 4D000005
	ds_read_b32 v78, v5 offset:29736                           // 000000009610: D86C7428 4E000005
	ds_read_b32 v79, v5 offset:34088                           // 000000009618: D86C8528 4F000005
	s_waitcnt lgkmcnt(0)                                       // 000000009620: BF8CC07F
	s_setvskip s20, 0                                          // 000000009624: BF108014
	global_atomic_pk_add_bf16 v80, v64, s[8:9]                 // 000000009628: DD488000 00084050
	s_setvskip 0, 0                                            // 000000009630: BF108080
	s_setvskip s20, 0                                          // 000000009634: BF108014
	global_atomic_pk_add_bf16 v80, v65, s[8:9] offset:256      // 000000009638: DD488100 00084150
	s_setvskip 0, 0                                            // 000000009640: BF108080
	s_setvskip s20, 1                                          // 000000009644: BF108114
	global_atomic_pk_add_bf16 v82, v66, s[8:9]                 // 000000009648: DD488000 00084252
	s_setvskip 0, 0                                            // 000000009650: BF108080
	s_setvskip s20, 1                                          // 000000009654: BF108114
	global_atomic_pk_add_bf16 v82, v67, s[8:9] offset:256      // 000000009658: DD488100 00084352
	s_setvskip 0, 0                                            // 000000009660: BF108080
	s_setvskip s20, 2                                          // 000000009664: BF108214
	global_atomic_pk_add_bf16 v84, v68, s[8:9]                 // 000000009668: DD488000 00084454
	s_setvskip 0, 0                                            // 000000009670: BF108080
	s_setvskip s20, 2                                          // 000000009674: BF108214
	global_atomic_pk_add_bf16 v84, v69, s[8:9] offset:256      // 000000009678: DD488100 00084554
	s_setvskip 0, 0                                            // 000000009680: BF108080
	s_setvskip s20, 3                                          // 000000009684: BF108314
	global_atomic_pk_add_bf16 v86, v70, s[8:9]                 // 000000009688: DD488000 00084656
	s_setvskip 0, 0                                            // 000000009690: BF108080
	s_setvskip s20, 3                                          // 000000009694: BF108314
	global_atomic_pk_add_bf16 v86, v71, s[8:9] offset:256      // 000000009698: DD488100 00084756
	s_setvskip 0, 0                                            // 0000000096A0: BF108080
	s_setvskip s20, 4                                          // 0000000096A4: BF108414
	global_atomic_pk_add_bf16 v88, v72, s[8:9]                 // 0000000096A8: DD488000 00084858
	s_setvskip 0, 0                                            // 0000000096B0: BF108080
	s_setvskip s20, 4                                          // 0000000096B4: BF108414
	global_atomic_pk_add_bf16 v88, v73, s[8:9] offset:256      // 0000000096B8: DD488100 00084958
	s_setvskip 0, 0                                            // 0000000096C0: BF108080
	s_setvskip s20, 5                                          // 0000000096C4: BF108514
	global_atomic_pk_add_bf16 v90, v74, s[8:9]                 // 0000000096C8: DD488000 00084A5A
	s_setvskip 0, 0                                            // 0000000096D0: BF108080
	s_setvskip s20, 5                                          // 0000000096D4: BF108514
	global_atomic_pk_add_bf16 v90, v75, s[8:9] offset:256      // 0000000096D8: DD488100 00084B5A
	s_setvskip 0, 0                                            // 0000000096E0: BF108080
	s_setvskip s20, 6                                          // 0000000096E4: BF108614
	global_atomic_pk_add_bf16 v92, v76, s[8:9]                 // 0000000096E8: DD488000 00084C5C
	s_setvskip 0, 0                                            // 0000000096F0: BF108080
	s_setvskip s20, 6                                          // 0000000096F4: BF108614
	global_atomic_pk_add_bf16 v92, v77, s[8:9] offset:256      // 0000000096F8: DD488100 00084D5C
	s_setvskip 0, 0                                            // 000000009700: BF108080
	s_setvskip s20, 7                                          // 000000009704: BF108714
	global_atomic_pk_add_bf16 v94, v78, s[8:9]                 // 000000009708: DD488000 00084E5E
	s_setvskip 0, 0                                            // 000000009710: BF108080
	s_setvskip s20, 7                                          // 000000009714: BF108714
	global_atomic_pk_add_bf16 v94, v79, s[8:9] offset:256      // 000000009718: DD488100 00084F5E
	s_setvskip 0, 0                                            // 000000009720: BF108080
	s_branch label_1B20                                        // 000000009724: BF8200D6

0000000000009728 <label_1A4A>:
	ds_read_b32 v64, v5 offset:20992                           // 000000009728: D86C5200 40000005
	ds_read_b32 v65, v5 offset:25344                           // 000000009730: D86C6300 41000005
	ds_read_b32 v66, v5 offset:21000                           // 000000009738: D86C5208 42000005
	ds_read_b32 v67, v5 offset:25352                           // 000000009740: D86C6308 43000005
	ds_read_b32 v68, v5 offset:21024                           // 000000009748: D86C5220 44000005
	ds_read_b32 v69, v5 offset:25376                           // 000000009750: D86C6320 45000005
	ds_read_b32 v70, v5 offset:21032                           // 000000009758: D86C5228 46000005
	ds_read_b32 v71, v5 offset:25384                           // 000000009760: D86C6328 47000005
	ds_read_b32 v72, v5 offset:29696                           // 000000009768: D86C7400 48000005
	ds_read_b32 v73, v5 offset:34048                           // 000000009770: D86C8500 49000005
	ds_read_b32 v74, v5 offset:29704                           // 000000009778: D86C7408 4A000005
	ds_read_b32 v75, v5 offset:34056                           // 000000009780: D86C8508 4B000005
	ds_read_b32 v76, v5 offset:29728                           // 000000009788: D86C7420 4C000005
	ds_read_b32 v77, v5 offset:34080                           // 000000009790: D86C8520 4D000005
	ds_read_b32 v78, v5 offset:29736                           // 000000009798: D86C7428 4E000005
	ds_read_b32 v79, v5 offset:34088                           // 0000000097A0: D86C8528 4F000005
	s_waitcnt lgkmcnt(0)                                       // 0000000097A8: BF8CC07F
	s_setvskip s20, 0                                          // 0000000097AC: BF108014
	global_atomic_pk_add_bf16 v80, v64, s[8:9]                 // 0000000097B0: DD488000 00084050
	s_setvskip 0, 0                                            // 0000000097B8: BF108080
	s_setvskip s20, 0                                          // 0000000097BC: BF108014
	global_atomic_pk_add_bf16 v80, v65, s[8:9] offset:256      // 0000000097C0: DD488100 00084150
	s_setvskip 0, 0                                            // 0000000097C8: BF108080
	s_setvskip s20, 1                                          // 0000000097CC: BF108114
	global_atomic_pk_add_bf16 v82, v66, s[8:9]                 // 0000000097D0: DD488000 00084252
	s_setvskip 0, 0                                            // 0000000097D8: BF108080
	s_setvskip s20, 1                                          // 0000000097DC: BF108114
	global_atomic_pk_add_bf16 v82, v67, s[8:9] offset:256      // 0000000097E0: DD488100 00084352
	s_setvskip 0, 0                                            // 0000000097E8: BF108080
	s_setvskip s20, 2                                          // 0000000097EC: BF108214
	global_atomic_pk_add_bf16 v84, v68, s[8:9]                 // 0000000097F0: DD488000 00084454
	s_setvskip 0, 0                                            // 0000000097F8: BF108080
	s_setvskip s20, 2                                          // 0000000097FC: BF108214
	global_atomic_pk_add_bf16 v84, v69, s[8:9] offset:256      // 000000009800: DD488100 00084554
	s_setvskip 0, 0                                            // 000000009808: BF108080
	s_setvskip s20, 3                                          // 00000000980C: BF108314
	global_atomic_pk_add_bf16 v86, v70, s[8:9]                 // 000000009810: DD488000 00084656
	s_setvskip 0, 0                                            // 000000009818: BF108080
	s_setvskip s20, 3                                          // 00000000981C: BF108314
	global_atomic_pk_add_bf16 v86, v71, s[8:9] offset:256      // 000000009820: DD488100 00084756
	s_setvskip 0, 0                                            // 000000009828: BF108080
	s_setvskip s20, 4                                          // 00000000982C: BF108414
	global_atomic_pk_add_bf16 v88, v72, s[8:9]                 // 000000009830: DD488000 00084858
	s_setvskip 0, 0                                            // 000000009838: BF108080
	s_setvskip s20, 4                                          // 00000000983C: BF108414
	global_atomic_pk_add_bf16 v88, v73, s[8:9] offset:256      // 000000009840: DD488100 00084958
	s_setvskip 0, 0                                            // 000000009848: BF108080
	s_setvskip s20, 5                                          // 00000000984C: BF108514
	global_atomic_pk_add_bf16 v90, v74, s[8:9]                 // 000000009850: DD488000 00084A5A
	s_setvskip 0, 0                                            // 000000009858: BF108080
	s_setvskip s20, 5                                          // 00000000985C: BF108514
	global_atomic_pk_add_bf16 v90, v75, s[8:9] offset:256      // 000000009860: DD488100 00084B5A
	s_setvskip 0, 0                                            // 000000009868: BF108080
	s_setvskip s20, 6                                          // 00000000986C: BF108614
	global_atomic_pk_add_bf16 v92, v76, s[8:9]                 // 000000009870: DD488000 00084C5C
	s_setvskip 0, 0                                            // 000000009878: BF108080
	s_setvskip s20, 6                                          // 00000000987C: BF108614
	global_atomic_pk_add_bf16 v92, v77, s[8:9] offset:256      // 000000009880: DD488100 00084D5C
	s_setvskip 0, 0                                            // 000000009888: BF108080
	s_setvskip s20, 7                                          // 00000000988C: BF108714
	global_atomic_pk_add_bf16 v94, v78, s[8:9]                 // 000000009890: DD488000 00084E5E
	s_setvskip 0, 0                                            // 000000009898: BF108080
	s_setvskip s20, 7                                          // 00000000989C: BF108714
	global_atomic_pk_add_bf16 v94, v79, s[8:9] offset:256      // 0000000098A0: DD488100 00084F5E
	s_setvskip 0, 0                                            // 0000000098A8: BF108080
	s_add_u32 s8, s59, s8                                      // 0000000098AC: 8008083B
	s_addc_u32 s9, 0, s9                                       // 0000000098B0: 82090980
	ds_write_b64 v4, v[224:225] offset:38400                   // 0000000098B4: D89A9600 0000E004
	ds_write_b64 v4, v[226:227] offset:47104                   // 0000000098BC: D89AB800 0000E204
	ds_write_b64 v4, v[228:229] offset:40576                   // 0000000098C4: D89A9E80 0000E404
	ds_write_b64 v4, v[230:231] offset:49280                   // 0000000098CC: D89AC080 0000E604
	ds_write_b64 v4, v[232:233] offset:42752                   // 0000000098D4: D89AA700 0000E804
	ds_write_b64 v4, v[234:235] offset:51456                   // 0000000098DC: D89AC900 0000EA04
	ds_write_b64 v4, v[236:237] offset:44928                   // 0000000098E4: D89AAF80 0000EC04
	ds_write_b64 v4, v[238:239] offset:53632                   // 0000000098EC: D89AD180 0000EE04
	s_waitcnt lgkmcnt(0)                                       // 0000000098F4: BF8CC07F
	s_barrier                                                  // 0000000098F8: BF8A0000
	ds_read_b32 v64, v5 offset:38400                           // 0000000098FC: D86C9600 40000005
	ds_read_b32 v65, v5 offset:42752                           // 000000009904: D86CA700 41000005
	ds_read_b32 v66, v5 offset:38408                           // 00000000990C: D86C9608 42000005
	ds_read_b32 v67, v5 offset:42760                           // 000000009914: D86CA708 43000005
	ds_read_b32 v68, v5 offset:38432                           // 00000000991C: D86C9620 44000005
	ds_read_b32 v69, v5 offset:42784                           // 000000009924: D86CA720 45000005
	ds_read_b32 v70, v5 offset:38440                           // 00000000992C: D86C9628 46000005
	ds_read_b32 v71, v5 offset:42792                           // 000000009934: D86CA728 47000005
	ds_read_b32 v72, v5 offset:47104                           // 00000000993C: D86CB800 48000005
	ds_read_b32 v73, v5 offset:51456                           // 000000009944: D86CC900 49000005
	ds_read_b32 v74, v5 offset:47112                           // 00000000994C: D86CB808 4A000005
	ds_read_b32 v75, v5 offset:51464                           // 000000009954: D86CC908 4B000005
	ds_read_b32 v76, v5 offset:47136                           // 00000000995C: D86CB820 4C000005
	ds_read_b32 v77, v5 offset:51488                           // 000000009964: D86CC920 4D000005
	ds_read_b32 v78, v5 offset:47144                           // 00000000996C: D86CB828 4E000005
	ds_read_b32 v79, v5 offset:51496                           // 000000009974: D86CC928 4F000005
	s_waitcnt lgkmcnt(0)                                       // 00000000997C: BF8CC07F
	s_setvskip s20, 0                                          // 000000009980: BF108014
	global_atomic_pk_add_bf16 v80, v64, s[8:9]                 // 000000009984: DD488000 00084050
	s_setvskip 0, 0                                            // 00000000998C: BF108080
	s_setvskip s20, 0                                          // 000000009990: BF108014
	global_atomic_pk_add_bf16 v80, v65, s[8:9] offset:256      // 000000009994: DD488100 00084150
	s_setvskip 0, 0                                            // 00000000999C: BF108080
	s_setvskip s20, 1                                          // 0000000099A0: BF108114
	global_atomic_pk_add_bf16 v82, v66, s[8:9]                 // 0000000099A4: DD488000 00084252
	s_setvskip 0, 0                                            // 0000000099AC: BF108080
	s_setvskip s20, 1                                          // 0000000099B0: BF108114
	global_atomic_pk_add_bf16 v82, v67, s[8:9] offset:256      // 0000000099B4: DD488100 00084352
	s_setvskip 0, 0                                            // 0000000099BC: BF108080
	s_setvskip s20, 2                                          // 0000000099C0: BF108214
	global_atomic_pk_add_bf16 v84, v68, s[8:9]                 // 0000000099C4: DD488000 00084454
	s_setvskip 0, 0                                            // 0000000099CC: BF108080
	s_setvskip s20, 2                                          // 0000000099D0: BF108214
	global_atomic_pk_add_bf16 v84, v69, s[8:9] offset:256      // 0000000099D4: DD488100 00084554
	s_setvskip 0, 0                                            // 0000000099DC: BF108080
	s_setvskip s20, 3                                          // 0000000099E0: BF108314
	global_atomic_pk_add_bf16 v86, v70, s[8:9]                 // 0000000099E4: DD488000 00084656
	s_setvskip 0, 0                                            // 0000000099EC: BF108080
	s_setvskip s20, 3                                          // 0000000099F0: BF108314
	global_atomic_pk_add_bf16 v86, v71, s[8:9] offset:256      // 0000000099F4: DD488100 00084756
	s_setvskip 0, 0                                            // 0000000099FC: BF108080
	s_setvskip s20, 4                                          // 000000009A00: BF108414
	global_atomic_pk_add_bf16 v88, v72, s[8:9]                 // 000000009A04: DD488000 00084858
	s_setvskip 0, 0                                            // 000000009A0C: BF108080
	s_setvskip s20, 4                                          // 000000009A10: BF108414
	global_atomic_pk_add_bf16 v88, v73, s[8:9] offset:256      // 000000009A14: DD488100 00084958
	s_setvskip 0, 0                                            // 000000009A1C: BF108080
	s_setvskip s20, 5                                          // 000000009A20: BF108514
	global_atomic_pk_add_bf16 v90, v74, s[8:9]                 // 000000009A24: DD488000 00084A5A
	s_setvskip 0, 0                                            // 000000009A2C: BF108080
	s_setvskip s20, 5                                          // 000000009A30: BF108514
	global_atomic_pk_add_bf16 v90, v75, s[8:9] offset:256      // 000000009A34: DD488100 00084B5A
	s_setvskip 0, 0                                            // 000000009A3C: BF108080
	s_setvskip s20, 6                                          // 000000009A40: BF108614
	global_atomic_pk_add_bf16 v92, v76, s[8:9]                 // 000000009A44: DD488000 00084C5C
	s_setvskip 0, 0                                            // 000000009A4C: BF108080
	s_setvskip s20, 6                                          // 000000009A50: BF108614
	global_atomic_pk_add_bf16 v92, v77, s[8:9] offset:256      // 000000009A54: DD488100 00084D5C
	s_setvskip 0, 0                                            // 000000009A5C: BF108080
	s_setvskip s20, 7                                          // 000000009A60: BF108714
	global_atomic_pk_add_bf16 v94, v78, s[8:9]                 // 000000009A64: DD488000 00084E5E
	s_setvskip 0, 0                                            // 000000009A6C: BF108080
	s_setvskip s20, 7                                          // 000000009A70: BF108714
	global_atomic_pk_add_bf16 v94, v79, s[8:9] offset:256      // 000000009A74: DD488100 00084F5E
	s_setvskip 0, 0                                            // 000000009A7C: BF108080

0000000000009a80 <label_1B20>:
	s_waitcnt vmcnt(0) expcnt(0) lgkmcnt(0)                    // 000000009A80: BF8C0000
	s_add_u32 s100, s100, 1                                    // 000000009A84: 80648164
	s_cmp_eq_u32 s96, 0                                        // 000000009A88: BF068060
	s_cbranch_scc0 label_0039                                  // 000000009A8C: BF84E515

0000000000009a90 <label_1B24>:
	s_waitcnt vmcnt(0) expcnt(0) lgkmcnt(0)                    // 000000009A90: BF8C0000
	s_endpgm                                                   // 000000009A94: BF810000
